;; amdgpu-corpus repo=ROCm/rocFFT kind=compiled arch=gfx1030 opt=O3
	.text
	.amdgcn_target "amdgcn-amd-amdhsa--gfx1030"
	.amdhsa_code_object_version 6
	.protected	fft_rtc_fwd_len1156_factors_17_2_17_2_wgs_204_tpt_68_halfLds_half_ip_CI_unitstride_sbrr_dirReg ; -- Begin function fft_rtc_fwd_len1156_factors_17_2_17_2_wgs_204_tpt_68_halfLds_half_ip_CI_unitstride_sbrr_dirReg
	.globl	fft_rtc_fwd_len1156_factors_17_2_17_2_wgs_204_tpt_68_halfLds_half_ip_CI_unitstride_sbrr_dirReg
	.p2align	8
	.type	fft_rtc_fwd_len1156_factors_17_2_17_2_wgs_204_tpt_68_halfLds_half_ip_CI_unitstride_sbrr_dirReg,@function
fft_rtc_fwd_len1156_factors_17_2_17_2_wgs_204_tpt_68_halfLds_half_ip_CI_unitstride_sbrr_dirReg: ; @fft_rtc_fwd_len1156_factors_17_2_17_2_wgs_204_tpt_68_halfLds_half_ip_CI_unitstride_sbrr_dirReg
; %bb.0:
	s_load_dwordx4 s[8:11], s[4:5], 0x0
	v_mul_u32_u24_e32 v1, 0x3c4, v0
	s_clause 0x1
	s_load_dwordx2 s[2:3], s[4:5], 0x50
	s_load_dwordx2 s[12:13], s[4:5], 0x18
	v_mov_b32_e32 v5, 0
	v_mov_b32_e32 v3, 0
	;; [unrolled: 1-line block ×3, first 2 shown]
	v_lshrrev_b32_e32 v1, 16, v1
	v_mad_u64_u32 v[1:2], null, s6, 3, v[1:2]
	v_mov_b32_e32 v2, v5
	v_mov_b32_e32 v10, v2
	;; [unrolled: 1-line block ×3, first 2 shown]
	s_waitcnt lgkmcnt(0)
	v_cmp_lt_u64_e64 s0, s[10:11], 2
	s_and_b32 vcc_lo, exec_lo, s0
	s_cbranch_vccnz .LBB0_8
; %bb.1:
	s_load_dwordx2 s[0:1], s[4:5], 0x10
	v_mov_b32_e32 v3, 0
	v_mov_b32_e32 v8, v2
	s_add_u32 s6, s12, 8
	v_mov_b32_e32 v4, 0
	v_mov_b32_e32 v7, v1
	s_addc_u32 s7, s13, 0
	s_mov_b64 s[16:17], 1
	s_waitcnt lgkmcnt(0)
	s_add_u32 s14, s0, 8
	s_addc_u32 s15, s1, 0
.LBB0_2:                                ; =>This Inner Loop Header: Depth=1
	s_load_dwordx2 s[18:19], s[14:15], 0x0
                                        ; implicit-def: $vgpr9_vgpr10
	s_mov_b32 s0, exec_lo
	s_waitcnt lgkmcnt(0)
	v_or_b32_e32 v6, s19, v8
	v_cmpx_ne_u64_e32 0, v[5:6]
	s_xor_b32 s1, exec_lo, s0
	s_cbranch_execz .LBB0_4
; %bb.3:                                ;   in Loop: Header=BB0_2 Depth=1
	v_cvt_f32_u32_e32 v2, s18
	v_cvt_f32_u32_e32 v6, s19
	s_sub_u32 s0, 0, s18
	s_subb_u32 s20, 0, s19
	v_fmac_f32_e32 v2, 0x4f800000, v6
	v_rcp_f32_e32 v2, v2
	v_mul_f32_e32 v2, 0x5f7ffffc, v2
	v_mul_f32_e32 v6, 0x2f800000, v2
	v_trunc_f32_e32 v6, v6
	v_fmac_f32_e32 v2, 0xcf800000, v6
	v_cvt_u32_f32_e32 v6, v6
	v_cvt_u32_f32_e32 v2, v2
	v_mul_lo_u32 v9, s0, v6
	v_mul_hi_u32 v10, s0, v2
	v_mul_lo_u32 v11, s20, v2
	v_add_nc_u32_e32 v9, v10, v9
	v_mul_lo_u32 v10, s0, v2
	v_add_nc_u32_e32 v9, v9, v11
	v_mul_hi_u32 v11, v2, v10
	v_mul_lo_u32 v12, v2, v9
	v_mul_hi_u32 v13, v2, v9
	v_mul_hi_u32 v14, v6, v10
	v_mul_lo_u32 v10, v6, v10
	v_mul_hi_u32 v15, v6, v9
	v_mul_lo_u32 v9, v6, v9
	v_add_co_u32 v11, vcc_lo, v11, v12
	v_add_co_ci_u32_e32 v12, vcc_lo, 0, v13, vcc_lo
	v_add_co_u32 v10, vcc_lo, v11, v10
	v_add_co_ci_u32_e32 v10, vcc_lo, v12, v14, vcc_lo
	v_add_co_ci_u32_e32 v11, vcc_lo, 0, v15, vcc_lo
	v_add_co_u32 v9, vcc_lo, v10, v9
	v_add_co_ci_u32_e32 v10, vcc_lo, 0, v11, vcc_lo
	v_add_co_u32 v2, vcc_lo, v2, v9
	v_add_co_ci_u32_e32 v6, vcc_lo, v6, v10, vcc_lo
	v_mul_hi_u32 v9, s0, v2
	v_mul_lo_u32 v11, s20, v2
	v_mul_lo_u32 v10, s0, v6
	v_add_nc_u32_e32 v9, v9, v10
	v_mul_lo_u32 v10, s0, v2
	v_add_nc_u32_e32 v9, v9, v11
	v_mul_hi_u32 v11, v2, v10
	v_mul_lo_u32 v12, v2, v9
	v_mul_hi_u32 v13, v2, v9
	v_mul_hi_u32 v14, v6, v10
	v_mul_lo_u32 v10, v6, v10
	v_mul_hi_u32 v15, v6, v9
	v_mul_lo_u32 v9, v6, v9
	v_add_co_u32 v11, vcc_lo, v11, v12
	v_add_co_ci_u32_e32 v12, vcc_lo, 0, v13, vcc_lo
	v_add_co_u32 v10, vcc_lo, v11, v10
	v_add_co_ci_u32_e32 v10, vcc_lo, v12, v14, vcc_lo
	v_add_co_ci_u32_e32 v11, vcc_lo, 0, v15, vcc_lo
	v_add_co_u32 v9, vcc_lo, v10, v9
	v_add_co_ci_u32_e32 v10, vcc_lo, 0, v11, vcc_lo
	v_add_co_u32 v2, vcc_lo, v2, v9
	v_add_co_ci_u32_e32 v6, vcc_lo, v6, v10, vcc_lo
	v_mul_hi_u32 v15, v7, v2
	v_mad_u64_u32 v[11:12], null, v8, v2, 0
	v_mad_u64_u32 v[9:10], null, v7, v6, 0
	v_mad_u64_u32 v[13:14], null, v8, v6, 0
	v_add_co_u32 v2, vcc_lo, v15, v9
	v_add_co_ci_u32_e32 v6, vcc_lo, 0, v10, vcc_lo
	v_add_co_u32 v2, vcc_lo, v2, v11
	v_add_co_ci_u32_e32 v2, vcc_lo, v6, v12, vcc_lo
	v_add_co_ci_u32_e32 v6, vcc_lo, 0, v14, vcc_lo
	v_add_co_u32 v2, vcc_lo, v2, v13
	v_add_co_ci_u32_e32 v6, vcc_lo, 0, v6, vcc_lo
	v_mul_lo_u32 v11, s19, v2
	v_mad_u64_u32 v[9:10], null, s18, v2, 0
	v_mul_lo_u32 v12, s18, v6
	v_sub_co_u32 v9, vcc_lo, v7, v9
	v_add3_u32 v10, v10, v12, v11
	v_sub_nc_u32_e32 v11, v8, v10
	v_subrev_co_ci_u32_e64 v11, s0, s19, v11, vcc_lo
	v_add_co_u32 v12, s0, v2, 2
	v_add_co_ci_u32_e64 v13, s0, 0, v6, s0
	v_sub_co_u32 v14, s0, v9, s18
	v_sub_co_ci_u32_e32 v10, vcc_lo, v8, v10, vcc_lo
	v_subrev_co_ci_u32_e64 v11, s0, 0, v11, s0
	v_cmp_le_u32_e32 vcc_lo, s18, v14
	v_cmp_eq_u32_e64 s0, s19, v10
	v_cndmask_b32_e64 v14, 0, -1, vcc_lo
	v_cmp_le_u32_e32 vcc_lo, s19, v11
	v_cndmask_b32_e64 v15, 0, -1, vcc_lo
	v_cmp_le_u32_e32 vcc_lo, s18, v9
	;; [unrolled: 2-line block ×3, first 2 shown]
	v_cndmask_b32_e64 v16, 0, -1, vcc_lo
	v_cmp_eq_u32_e32 vcc_lo, s19, v11
	v_cndmask_b32_e64 v9, v16, v9, s0
	v_cndmask_b32_e32 v11, v15, v14, vcc_lo
	v_add_co_u32 v14, vcc_lo, v2, 1
	v_add_co_ci_u32_e32 v15, vcc_lo, 0, v6, vcc_lo
	v_cmp_ne_u32_e32 vcc_lo, 0, v11
	v_cndmask_b32_e32 v10, v15, v13, vcc_lo
	v_cndmask_b32_e32 v11, v14, v12, vcc_lo
	v_cmp_ne_u32_e32 vcc_lo, 0, v9
	v_cndmask_b32_e32 v10, v6, v10, vcc_lo
	v_cndmask_b32_e32 v9, v2, v11, vcc_lo
.LBB0_4:                                ;   in Loop: Header=BB0_2 Depth=1
	s_andn2_saveexec_b32 s0, s1
	s_cbranch_execz .LBB0_6
; %bb.5:                                ;   in Loop: Header=BB0_2 Depth=1
	v_cvt_f32_u32_e32 v2, s18
	s_sub_i32 s1, 0, s18
	v_rcp_iflag_f32_e32 v2, v2
	v_mul_f32_e32 v2, 0x4f7ffffe, v2
	v_cvt_u32_f32_e32 v2, v2
	v_mul_lo_u32 v6, s1, v2
	v_mul_hi_u32 v6, v2, v6
	v_add_nc_u32_e32 v2, v2, v6
	v_mul_hi_u32 v2, v7, v2
	v_mul_lo_u32 v6, v2, s18
	v_add_nc_u32_e32 v9, 1, v2
	v_sub_nc_u32_e32 v6, v7, v6
	v_subrev_nc_u32_e32 v10, s18, v6
	v_cmp_le_u32_e32 vcc_lo, s18, v6
	v_cndmask_b32_e32 v6, v6, v10, vcc_lo
	v_cndmask_b32_e32 v2, v2, v9, vcc_lo
	v_mov_b32_e32 v10, v5
	v_cmp_le_u32_e32 vcc_lo, s18, v6
	v_add_nc_u32_e32 v9, 1, v2
	v_cndmask_b32_e32 v9, v2, v9, vcc_lo
.LBB0_6:                                ;   in Loop: Header=BB0_2 Depth=1
	s_or_b32 exec_lo, exec_lo, s0
	s_load_dwordx2 s[0:1], s[6:7], 0x0
	v_mul_lo_u32 v2, v10, s18
	v_mul_lo_u32 v6, v9, s19
	v_mad_u64_u32 v[11:12], null, v9, s18, 0
	s_add_u32 s16, s16, 1
	s_addc_u32 s17, s17, 0
	s_add_u32 s6, s6, 8
	s_addc_u32 s7, s7, 0
	;; [unrolled: 2-line block ×3, first 2 shown]
	v_add3_u32 v2, v12, v6, v2
	v_sub_co_u32 v6, vcc_lo, v7, v11
	v_sub_co_ci_u32_e32 v2, vcc_lo, v8, v2, vcc_lo
	s_waitcnt lgkmcnt(0)
	v_mul_lo_u32 v7, s1, v6
	v_mul_lo_u32 v2, s0, v2
	v_mad_u64_u32 v[3:4], null, s0, v6, v[3:4]
	v_cmp_ge_u64_e64 s0, s[16:17], s[10:11]
	s_and_b32 vcc_lo, exec_lo, s0
	v_add3_u32 v4, v7, v4, v2
	s_cbranch_vccnz .LBB0_8
; %bb.7:                                ;   in Loop: Header=BB0_2 Depth=1
	v_mov_b32_e32 v7, v9
	v_mov_b32_e32 v8, v10
	s_branch .LBB0_2
.LBB0_8:
	s_lshl_b64 s[0:1], s[10:11], 3
	v_mul_hi_u32 v5, 0x3c3c3c4, v0
	s_add_u32 s0, s12, s0
	s_addc_u32 s1, s13, s1
                                        ; implicit-def: $vgpr51
                                        ; implicit-def: $vgpr11
                                        ; implicit-def: $vgpr49
                                        ; implicit-def: $vgpr14
                                        ; implicit-def: $vgpr48
                                        ; implicit-def: $vgpr22
                                        ; implicit-def: $vgpr47
                                        ; implicit-def: $vgpr23
                                        ; implicit-def: $vgpr45
                                        ; implicit-def: $vgpr30
                                        ; implicit-def: $vgpr42
                                        ; implicit-def: $vgpr33
                                        ; implicit-def: $vgpr41
                                        ; implicit-def: $vgpr35
                                        ; implicit-def: $vgpr39
                                        ; implicit-def: $vgpr43
                                        ; implicit-def: $vgpr38
                                        ; implicit-def: $vgpr44
                                        ; implicit-def: $vgpr37
                                        ; implicit-def: $vgpr46
                                        ; implicit-def: $vgpr36
                                        ; implicit-def: $vgpr50
                                        ; implicit-def: $vgpr34
                                        ; implicit-def: $vgpr52
                                        ; implicit-def: $vgpr32
                                        ; implicit-def: $vgpr53
                                        ; implicit-def: $vgpr31
                                        ; implicit-def: $vgpr54
                                        ; implicit-def: $vgpr28
                                        ; implicit-def: $vgpr55
                                        ; implicit-def: $vgpr26
                                        ; implicit-def: $vgpr56
	s_load_dwordx2 s[0:1], s[0:1], 0x0
	s_load_dwordx2 s[4:5], s[4:5], 0x20
	s_waitcnt lgkmcnt(0)
	v_mul_lo_u32 v6, s0, v10
	v_mul_lo_u32 v7, s1, v9
	v_mad_u64_u32 v[2:3], null, s0, v9, v[3:4]
	v_mul_u32_u24_e32 v4, 0x44, v5
	v_cmp_gt_u64_e32 vcc_lo, s[4:5], v[9:10]
	v_sub_nc_u32_e32 v16, v0, v4
	v_add3_u32 v3, v7, v3, v6
	v_mov_b32_e32 v0, 0
	v_lshlrev_b64 v[18:19], 2, v[2:3]
	s_and_saveexec_b32 s1, vcc_lo
	s_cbranch_execz .LBB0_10
; %bb.9:
	v_mov_b32_e32 v17, 0
	v_add_co_u32 v0, s0, s2, v18
	v_add_co_ci_u32_e64 v4, s0, s3, v19, s0
	v_lshlrev_b64 v[2:3], 2, v[16:17]
	v_add_co_u32 v2, s0, v0, v2
	v_add_co_ci_u32_e64 v3, s0, v4, v3, s0
	s_clause 0x6
	global_load_dword v11, v[2:3], off offset:272
	global_load_dword v14, v[2:3], off offset:544
	;; [unrolled: 1-line block ×7, first 2 shown]
	v_add_co_u32 v4, s0, 0x800, v2
	v_add_co_ci_u32_e64 v5, s0, 0, v3, s0
	v_add_co_u32 v6, s0, 0x1000, v2
	v_add_co_ci_u32_e64 v7, s0, 0, v3, s0
	s_clause 0x9
	global_load_dword v43, v[4:5], off offset:128
	global_load_dword v44, v[4:5], off offset:400
	;; [unrolled: 1-line block ×9, first 2 shown]
	global_load_dword v0, v[2:3], off
	s_waitcnt vmcnt(16)
	v_lshrrev_b32_e32 v51, 16, v11
	s_waitcnt vmcnt(15)
	v_lshrrev_b32_e32 v49, 16, v14
	;; [unrolled: 2-line block ×16, first 2 shown]
.LBB0_10:
	s_or_b32 exec_lo, exec_lo, s1
	v_add_f16_e32 v2, v11, v56
	v_sub_f16_e32 v5, v51, v26
	v_add_f16_e32 v4, v14, v55
	v_sub_f16_e32 v6, v49, v28
	v_add_f16_e32 v8, v22, v54
	v_pk_mul_f16 v7, 0x39e93b76, v2 op_sel_hi:[1,0]
	v_sub_f16_e32 v9, v48, v31
	v_pk_mul_f16 v12, 0x2de839e9, v4 op_sel_hi:[1,0]
	v_add_f16_e32 v10, v23, v53
	v_pk_mul_f16 v20, 0xb8d23722, v8 op_sel_hi:[1,0]
	v_pk_fma_f16 v13, 0xb964b5c8, v5, v7 op_sel_hi:[1,0,1] neg_lo:[0,1,0] neg_hi:[0,1,0]
	v_mul_hi_u32 v3, 0xaaaaaaab, v1
	v_pk_fma_f16 v21, 0xbbf7b964, v6, v12 op_sel_hi:[1,0,1] neg_lo:[0,1,0] neg_hi:[0,1,0]
	v_sub_f16_e32 v15, v47, v32
	v_add_f16_e32 v17, v30, v52
	s_waitcnt vmcnt(0)
	v_pk_add_f16 v13, v13, v0 op_sel_hi:[1,0]
	v_pk_mul_f16 v27, 0xbbdd2de8, v10 op_sel_hi:[1,0]
	v_pk_fma_f16 v29, 0xba62bb29, v9, v20 op_sel_hi:[1,0,1] neg_lo:[0,1,0] neg_hi:[0,1,0]
	v_pk_mul_f16 v40, 0x2de83722, v2 op_sel_hi:[1,0]
	v_sub_f16_e32 v24, v45, v34
	v_pk_add_f16 v13, v21, v13
	v_lshrrev_b32_e32 v3, 1, v3
	v_pk_fma_f16 v57, 0xb1e1bbf7, v15, v27 op_sel_hi:[1,0,1] neg_lo:[0,1,0] neg_hi:[0,1,0]
	v_pk_mul_f16 v58, 0xbbddb8d2, v4 op_sel_hi:[1,0]
	v_pk_fma_f16 v59, 0xbbf7bb29, v5, v40 op_sel_hi:[1,0,1] neg_lo:[0,1,0] neg_hi:[0,1,0]
	v_pk_add_f16 v13, v29, v13
	v_pk_mul_f16 v29, 0xbacdb461, v17 op_sel_hi:[1,0]
	v_lshl_add_u32 v3, v3, 1, v3
	v_pk_fma_f16 v61, 0xb1e1ba62, v6, v58 op_sel_hi:[1,0,1] neg_lo:[0,1,0] neg_hi:[0,1,0]
	v_pk_add_f16 v59, v59, v0 op_sel_hi:[1,0]
	v_pk_add_f16 v13, v57, v13
	v_pk_fma_f16 v57, 0x3836bbb2, v24, v29 op_sel_hi:[1,0,1] neg_lo:[0,1,0] neg_hi:[0,1,0]
	v_pk_mul_f16 v62, 0xb461bbdd, v8 op_sel_hi:[1,0]
	v_add_f16_e32 v25, v33, v50
	v_sub_nc_u32_e32 v1, v1, v3
	v_pk_mul_f16 v63, 0x3b76b461, v10 op_sel_hi:[1,0]
	v_pk_add_f16 v3, v57, v13
	v_pk_add_f16 v57, v61, v59
	v_pk_fma_f16 v61, 0x3bb231e1, v9, v62 op_sel_hi:[1,0,1] neg_lo:[0,1,0] neg_hi:[0,1,0]
	v_pk_mul_f16 v64, 0xb8d2b461, v2 op_sel_hi:[1,0]
	v_sub_f16_e32 v21, v42, v36
	v_pk_mul_f16 v60, 0xb461b8d2, v25 op_sel_hi:[1,0]
	v_pk_mul_f16 v65, 0x372239e9, v17 op_sel_hi:[1,0]
	v_pk_add_f16 v57, v61, v57
	v_pk_fma_f16 v61, 0x35c83bb2, v15, v63 op_sel_hi:[1,0,1] neg_lo:[0,1,0] neg_hi:[0,1,0]
	v_pk_fma_f16 v67, 0xba62bbb2, v5, v64 op_sel_hi:[1,0,1] neg_lo:[0,1,0] neg_hi:[0,1,0]
	v_pk_mul_f16 v68, 0xb461bacd, v4 op_sel_hi:[1,0]
	v_pk_fma_f16 v13, 0x3bb2ba62, v21, v60 op_sel_hi:[1,0,1] neg_lo:[0,1,0] neg_hi:[0,1,0]
	v_add_f16_e32 v59, v35, v46
	v_pk_add_f16 v57, v61, v57
	v_pk_fma_f16 v61, 0xbb293964, v24, v65 op_sel_hi:[1,0,1] neg_lo:[0,1,0] neg_hi:[0,1,0]
	v_pk_mul_f16 v69, 0xbacd3b76, v25 op_sel_hi:[1,0]
	v_pk_add_f16 v67, v67, v0 op_sel_hi:[1,0]
	v_pk_fma_f16 v70, 0x3bb23836, v6, v68 op_sel_hi:[1,0,1] neg_lo:[0,1,0] neg_hi:[0,1,0]
	v_pk_mul_f16 v71, 0x3b7639e9, v8 op_sel_hi:[1,0]
	v_pk_add_f16 v3, v13, v3
	v_sub_f16_e32 v13, v41, v37
	v_pk_mul_f16 v66, 0x3722bacd, v59 op_sel_hi:[1,0]
	v_pk_add_f16 v57, v61, v57
	v_pk_fma_f16 v61, 0xb836b5c8, v21, v69 op_sel_hi:[1,0,1] neg_lo:[0,1,0] neg_hi:[0,1,0]
	v_pk_mul_f16 v72, 0xb8d22de8, v59 op_sel_hi:[1,0]
	v_pk_add_f16 v67, v70, v67
	v_pk_fma_f16 v70, 0xb5c83964, v9, v71 op_sel_hi:[1,0,1] neg_lo:[0,1,0] neg_hi:[0,1,0]
	v_pk_mul_f16 v73, 0xbacd3722, v10 op_sel_hi:[1,0]
	v_pk_fma_f16 v74, 0x3b29b836, v13, v66 op_sel_hi:[1,0,1] neg_lo:[0,1,0] neg_hi:[0,1,0]
	v_pk_add_f16 v57, v61, v57
	v_pk_fma_f16 v61, 0x3a62bbf7, v13, v72 op_sel_hi:[1,0,1] neg_lo:[0,1,0] neg_hi:[0,1,0]
	v_pk_add_f16 v67, v70, v67
	v_pk_fma_f16 v70, 0xb836bb29, v15, v73 op_sel_hi:[1,0,1] neg_lo:[0,1,0] neg_hi:[0,1,0]
	v_pk_mul_f16 v75, 0x2de8bbdd, v17 op_sel_hi:[1,0]
	v_pk_add_f16 v3, v74, v3
	v_pk_add_f16 v57, v61, v57
	v_add_f16_e32 v61, v43, v44
	v_pk_add_f16 v67, v70, v67
	v_pk_fma_f16 v70, 0x3bf7b1e1, v24, v75 op_sel_hi:[1,0,1] neg_lo:[0,1,0] neg_hi:[0,1,0]
	v_pk_mul_f16 v74, 0x39e92de8, v25 op_sel_hi:[1,0]
	v_sub_f16_e32 v76, v39, v38
	v_pk_mul_f16 v77, 0x3b76bbdd, v61 op_sel_hi:[1,0]
	v_pk_mul_f16 v79, 0xbbdd3b76, v59 op_sel_hi:[1,0]
	v_pk_add_f16 v67, v70, v67
	v_pk_fma_f16 v70, 0xb9643bf7, v21, v74 op_sel_hi:[1,0,1] neg_lo:[0,1,0] neg_hi:[0,1,0]
	v_pk_mul_f16 v81, 0xbbddbacd, v2 op_sel_hi:[1,0]
	v_pk_fma_f16 v80, 0x35c8b1e1, v76, v77 op_sel_hi:[1,0,1] neg_lo:[0,1,0] neg_hi:[0,1,0]
	v_pk_mul_f16 v83, 0x3722b8d2, v61 op_sel_hi:[1,0]
	v_pk_mul_f16 v85, 0x3b763722, v4 op_sel_hi:[1,0]
	v_pk_add_f16 v67, v70, v67
	v_pk_fma_f16 v70, 0xb1e1b5c8, v13, v79 op_sel_hi:[1,0,1] neg_lo:[0,1,0] neg_hi:[0,1,0]
	v_pk_fma_f16 v84, 0xb1e1b836, v5, v81 op_sel_hi:[1,0,1] neg_lo:[0,1,0] neg_hi:[0,1,0]
	v_pk_mul_f16 v78, 0x39e9bacd, v61 op_sel_hi:[1,0]
	v_pk_add_f16 v2, v80, v3
	v_pk_fma_f16 v80, 0x35c83b29, v6, v85 op_sel_hi:[1,0,1] neg_lo:[0,1,0] neg_hi:[0,1,0]
	v_pk_add_f16 v4, v70, v67
	v_pk_fma_f16 v67, 0x3b29ba62, v76, v83 op_sel_hi:[1,0,1] neg_lo:[0,1,0] neg_hi:[0,1,0]
	v_pk_add_f16 v70, v84, v0 op_sel_hi:[1,0]
	v_pk_fma_f16 v82, 0x3964b836, v76, v78 op_sel_hi:[1,0,1] neg_lo:[0,1,0] neg_hi:[0,1,0]
	v_pk_mul_f16 v8, 0xbacd2de8, v8 op_sel_hi:[1,0]
	v_pk_mul_f16 v10, 0x39e9b8d2, v10 op_sel_hi:[1,0]
	v_pk_add_f16 v4, v67, v4
	v_pk_add_f16 v67, v80, v70
	v_add_f16_e32 v70, v11, v0
	v_pk_add_f16 v3, v82, v57
	v_pk_fma_f16 v57, 0xb1e1b836, v5, v81 op_sel_hi:[1,0,1]
	v_pk_fma_f16 v80, 0xb836bbf7, v9, v8 op_sel_hi:[1,0,1] neg_lo:[0,1,0] neg_hi:[0,1,0]
	v_pk_fma_f16 v81, 0x35c83b29, v6, v85 op_sel_hi:[1,0,1]
	v_add_f16_e32 v70, v14, v70
	v_pk_mul_f16 v17, 0xb8d23b76, v17 op_sel_hi:[1,0]
	v_pk_add_f16 v57, v57, v0 op_sel_hi:[1,0]
	v_pk_add_f16 v67, v80, v67
	v_pk_fma_f16 v80, 0x39643a62, v15, v10 op_sel_hi:[1,0,1] neg_lo:[0,1,0] neg_hi:[0,1,0]
	v_add_f16_e32 v70, v22, v70
	v_pk_fma_f16 v8, 0xb836bbf7, v9, v8 op_sel_hi:[1,0,1]
	v_pk_add_f16 v57, v81, v57
	v_pk_mul_f16 v25, 0x3722bbdd, v25 op_sel_hi:[1,0]
	v_pk_add_f16 v67, v80, v67
	v_pk_fma_f16 v80, 0xba62b5c8, v24, v17 op_sel_hi:[1,0,1] neg_lo:[0,1,0] neg_hi:[0,1,0]
	v_add_f16_e32 v70, v23, v70
	v_pk_add_f16 v8, v8, v57
	v_pk_fma_f16 v10, 0x39643a62, v15, v10 op_sel_hi:[1,0,1]
	v_pk_mul_f16 v59, 0xb46139e9, v59 op_sel_hi:[1,0]
	v_pk_add_f16 v57, v80, v67
	v_pk_fma_f16 v67, 0x3b29b1e1, v21, v25 op_sel_hi:[1,0,1] neg_lo:[0,1,0] neg_hi:[0,1,0]
	v_add_f16_e32 v70, v30, v70
	v_pk_add_f16 v8, v10, v8
	v_pk_fma_f16 v10, 0xba62b5c8, v24, v17 op_sel_hi:[1,0,1]
	v_pk_fma_f16 v64, 0xba62bbb2, v5, v64 op_sel_hi:[1,0,1]
	v_pk_add_f16 v17, v67, v57
	v_add_f16_e32 v57, v33, v70
	v_pk_fma_f16 v40, 0xbbf7bb29, v5, v40 op_sel_hi:[1,0,1]
	v_pk_add_f16 v8, v10, v8
	v_pk_fma_f16 v10, 0x3b29b1e1, v21, v25 op_sel_hi:[1,0,1]
	v_pk_fma_f16 v5, 0xb964b5c8, v5, v7 op_sel_hi:[1,0,1]
	v_add_f16_e32 v25, v35, v57
	v_pk_add_f16 v57, v64, v0 op_sel_hi:[1,0]
	v_pk_fma_f16 v64, 0x3bb23836, v6, v68 op_sel_hi:[1,0,1]
	v_pk_add_f16 v8, v10, v8
	v_pk_fma_f16 v67, 0xbbb23964, v13, v59 op_sel_hi:[1,0,1] neg_lo:[0,1,0] neg_hi:[0,1,0]
	v_add_f16_e32 v10, v43, v25
	v_pk_fma_f16 v25, 0xbbb23964, v13, v59 op_sel_hi:[1,0,1]
	v_pk_add_f16 v57, v64, v57
	v_pk_fma_f16 v59, 0xb5c83964, v9, v71 op_sel_hi:[1,0,1]
	v_pk_add_f16 v5, v5, v0 op_sel_hi:[1,0]
	v_add_f16_e32 v10, v44, v10
	v_pk_add_f16 v8, v25, v8
	v_pk_add_f16 v25, v40, v0 op_sel_hi:[1,0]
	v_pk_fma_f16 v40, 0xb1e1ba62, v6, v58 op_sel_hi:[1,0,1]
	v_pk_fma_f16 v6, 0xbbf7b964, v6, v12 op_sel_hi:[1,0,1]
	v_add_f16_e32 v10, v46, v10
	v_pk_add_f16 v57, v59, v57
	v_pk_fma_f16 v58, 0xb836bb29, v15, v73 op_sel_hi:[1,0,1]
	v_pk_add_f16 v7, v40, v25
	v_pk_fma_f16 v25, 0x3bb231e1, v9, v62 op_sel_hi:[1,0,1]
	v_add_f16_e32 v10, v50, v10
	v_pk_add_f16 v5, v6, v5
	v_pk_fma_f16 v6, 0x35c83bb2, v15, v63 op_sel_hi:[1,0,1]
	v_pk_fma_f16 v9, 0xba62bb29, v9, v20 op_sel_hi:[1,0,1]
	v_pk_add_f16 v7, v25, v7
	v_add_f16_e32 v10, v52, v10
	v_pk_add_f16 v12, v58, v57
	v_pk_fma_f16 v40, 0x3bf7b1e1, v24, v75 op_sel_hi:[1,0,1]
	v_pk_add_f16 v5, v9, v5
	v_pk_add_f16 v6, v6, v7
	v_add_f16_e32 v10, v53, v10
	v_pk_fma_f16 v20, 0xb9643bf7, v21, v74 op_sel_hi:[1,0,1]
	v_pk_add_f16 v12, v40, v12
	v_pk_fma_f16 v9, 0xbb293964, v24, v65 op_sel_hi:[1,0,1]
	v_mul_u32_u24_e32 v40, 0x484, v1
	v_add_f16_e32 v7, v54, v10
	v_pk_fma_f16 v10, 0xb1e1bbf7, v15, v27 op_sel_hi:[1,0,1]
	v_pk_add_f16 v12, v20, v12
	v_pk_add_f16 v6, v9, v6
	v_pk_fma_f16 v9, 0xb836b5c8, v21, v69 op_sel_hi:[1,0,1]
	v_add_f16_e32 v1, v55, v7
	v_pk_add_f16 v5, v10, v5
	v_pk_fma_f16 v7, 0x3836bbb2, v24, v29 op_sel_hi:[1,0,1]
	v_lshl_add_u32 v10, v40, 1, 0
	v_pk_add_f16 v6, v9, v6
	v_pk_fma_f16 v9, 0x3a62bbf7, v13, v72 op_sel_hi:[1,0,1]
	v_add_f16_e32 v15, v56, v1
	v_pk_add_f16 v5, v7, v5
	v_pk_fma_f16 v7, 0x3bb2ba62, v21, v60 op_sel_hi:[1,0,1]
	v_pk_fma_f16 v21, 0xb1e1b5c8, v13, v79 op_sel_hi:[1,0,1]
	v_pk_mul_f16 v1, 0x2de8b461, v61 op_sel_hi:[1,0]
	v_pk_add_f16 v6, v9, v6
	v_pk_fma_f16 v9, 0x3964b836, v76, v78 op_sel_hi:[1,0,1]
	v_pk_add_f16 v5, v7, v5
	v_pk_fma_f16 v7, 0x3b29b836, v13, v66 op_sel_hi:[1,0,1]
	;; [unrolled: 2-line block ×3, first 2 shown]
	v_pk_fma_f16 v20, 0x3bf7bbb2, v76, v1 op_sel_hi:[1,0,1]
	v_pk_add_f16 v17, v67, v17
	v_pk_add_f16 v5, v7, v5
	v_pk_fma_f16 v7, 0x35c8b1e1, v76, v77 op_sel_hi:[1,0,1]
	v_pk_add_f16 v12, v13, v12
	v_pk_fma_f16 v21, 0x3bf7bbb2, v76, v1 op_sel_hi:[1,0,1] neg_lo:[0,1,0] neg_hi:[0,1,0]
	v_mad_u32_u24 v57, v16, 34, v10
	v_pk_add_f16 v8, v20, v8
	v_pk_add_f16 v1, v7, v5
	v_alignbit_b32 v7, v12, v12, 16
	v_lshlrev_b32_e32 v12, 5, v16
	v_pk_add_f16 v9, v9, v6
	v_pk_add_f16 v5, v21, v17
	v_lshl_add_u32 v21, v16, 1, v10
	v_alignbit_b32 v6, v8, v8, 16
	v_sub_nc_u32_e32 v17, v57, v12
	v_alignbit_b32 v8, v9, v9, 16
	v_alignbit_b32 v9, v1, v1, 16
	ds_write_b16 v57, v15
	ds_write_b128 v57, v[2:5] offset:2
	ds_write_b128 v57, v[6:9] offset:18
	s_waitcnt lgkmcnt(0)
	s_barrier
	buffer_gl0_inv
	ds_read_u16 v24, v21
	ds_read_u16 v12, v17 offset:136
	ds_read_u16 v13, v17 offset:272
	;; [unrolled: 1-line block ×15, first 2 shown]
	v_cmp_gt_u32_e64 s0, 34, v16
                                        ; implicit-def: $vgpr3
	s_and_saveexec_b32 s1, s0
	s_cbranch_execz .LBB0_12
; %bb.11:
	ds_read_u16 v1, v17 offset:1088
	ds_read_u16 v3, v17 offset:2244
.LBB0_12:
	s_or_b32 exec_lo, exec_lo, s1
	v_add_f16_sdwa v58, v51, v0 dst_sel:DWORD dst_unused:UNUSED_PAD src0_sel:DWORD src1_sel:WORD_1
	v_sub_f16_e32 v56, v11, v56
	v_add_f16_e32 v51, v51, v26
	v_sub_f16_e32 v14, v14, v55
	v_sub_f16_e32 v52, v30, v52
	v_add_f16_e32 v11, v49, v58
	v_pk_mul_f16 v30, 0xb964b5c8, v56 op_sel_hi:[1,0]
	v_add_f16_e32 v59, v49, v28
	v_sub_f16_e32 v22, v22, v54
	v_sub_f16_e32 v35, v35, v46
	v_add_f16_e32 v11, v48, v11
	v_add_f16_e32 v46, v39, v38
	v_sub_f16_e32 v43, v43, v44
	v_pk_mul_f16 v44, 0xbbf7b964, v14 op_sel_hi:[1,0]
	v_add_f16_e32 v49, v48, v31
	v_add_f16_e32 v11, v47, v11
	v_add_f16_e32 v54, v47, v32
	v_sub_f16_e32 v23, v23, v53
	v_add_f16_e32 v48, v45, v34
	v_add_f16_e32 v47, v41, v37
	;; [unrolled: 1-line block ×3, first 2 shown]
	v_pk_mul_f16 v45, 0xba62bb29, v22 op_sel_hi:[1,0]
	v_pk_fma_f16 v64, 0x2de839e9, v59, v44 op_sel_hi:[1,0,1]
	v_sub_f16_e32 v33, v33, v50
	v_pk_mul_f16 v50, 0xb1e1bbf7, v23 op_sel_hi:[1,0]
	v_add_f16_e32 v11, v42, v11
	v_pk_fma_f16 v65, 0xb8d23722, v49, v45 op_sel_hi:[1,0,1]
	v_add_f16_e32 v53, v42, v36
	v_pk_mul_f16 v42, 0x3836bbb2, v52 op_sel_hi:[1,0]
	v_pk_mul_f16 v61, 0xb1e1ba62, v14 op_sel_hi:[1,0]
	v_add_f16_e32 v11, v41, v11
	v_pk_mul_f16 v41, 0xbbf7bb29, v56 op_sel_hi:[1,0]
	v_pk_fma_f16 v66, 0xbbdd2de8, v54, v50 op_sel_hi:[1,0,1]
	v_pk_mul_f16 v55, 0x3bb2ba62, v33 op_sel_hi:[1,0]
	v_pk_mul_f16 v62, 0x3bb231e1, v22 op_sel_hi:[1,0]
	v_add_f16_e32 v11, v39, v11
	v_pk_fma_f16 v39, 0x39e93b76, v51, v30 op_sel_hi:[1,0,1]
	v_pk_fma_f16 v30, 0x39e93b76, v51, v30 op_sel_hi:[1,0,1] neg_lo:[0,0,1] neg_hi:[0,0,1]
	v_pk_mul_f16 v58, 0x3b29b836, v35 op_sel_hi:[1,0]
	v_pk_mul_f16 v63, 0x35c83bb2, v23 op_sel_hi:[1,0]
	v_add_f16_e32 v11, v38, v11
	v_pk_add_f16 v39, v39, v0 op_sel:[0,1]
	v_pk_add_f16 v30, v30, v0 op_sel:[0,1]
	v_pk_fma_f16 v38, 0xbacdb461, v48, v42 op_sel_hi:[1,0,1]
	v_pk_fma_f16 v42, 0xbacdb461, v48, v42 op_sel_hi:[1,0,1] neg_lo:[0,0,1] neg_hi:[0,0,1]
	v_add_f16_e32 v11, v37, v11
	v_pk_fma_f16 v37, 0x2de839e9, v59, v44 op_sel_hi:[1,0,1] neg_lo:[0,0,1] neg_hi:[0,0,1]
	v_pk_fma_f16 v44, 0xb8d23722, v49, v45 op_sel_hi:[1,0,1] neg_lo:[0,0,1] neg_hi:[0,0,1]
	v_pk_add_f16 v39, v64, v39
	v_pk_fma_f16 v67, 0xb461b8d2, v53, v55 op_sel_hi:[1,0,1]
	v_add_f16_e32 v11, v36, v11
	v_pk_add_f16 v30, v37, v30
	v_pk_fma_f16 v36, 0xbbdd2de8, v54, v50 op_sel_hi:[1,0,1] neg_lo:[0,0,1] neg_hi:[0,0,1]
	v_pk_fma_f16 v37, 0x2de83722, v51, v41 op_sel_hi:[1,0,1]
	v_pk_add_f16 v39, v65, v39
	v_add_f16_e32 v11, v34, v11
	v_pk_add_f16 v30, v44, v30
	v_pk_fma_f16 v34, 0xb461b8d2, v53, v55 op_sel_hi:[1,0,1] neg_lo:[0,0,1] neg_hi:[0,0,1]
	v_pk_add_f16 v37, v37, v0 op_sel:[0,1]
	v_pk_add_f16 v39, v66, v39
	v_add_f16_e32 v11, v32, v11
	v_pk_fma_f16 v32, 0xbbddb8d2, v59, v61 op_sel_hi:[1,0,1]
	v_pk_add_f16 v30, v36, v30
	v_pk_mul_f16 v60, 0x35c8b1e1, v43 op_sel_hi:[1,0]
	v_pk_add_f16 v36, v38, v39
	v_add_f16_e32 v11, v31, v11
	v_pk_fma_f16 v31, 0xb461bbdd, v49, v62 op_sel_hi:[1,0,1]
	v_pk_add_f16 v32, v32, v37
	v_pk_add_f16 v30, v42, v30
	v_pk_fma_f16 v68, 0x3722bacd, v47, v58 op_sel_hi:[1,0,1]
	v_add_f16_e32 v11, v28, v11
	v_pk_fma_f16 v28, 0x3722bacd, v47, v58 op_sel_hi:[1,0,1] neg_lo:[0,0,1] neg_hi:[0,0,1]
	v_pk_add_f16 v31, v31, v32
	v_pk_add_f16 v32, v67, v36
	;; [unrolled: 1-line block ×3, first 2 shown]
	v_add_f16_e32 v26, v26, v11
	v_pk_fma_f16 v11, 0x3b76b461, v54, v63 op_sel_hi:[1,0,1]
	v_pk_mul_f16 v34, 0xbb293964, v52 op_sel_hi:[1,0]
	v_pk_add_f16 v32, v68, v32
	v_pk_fma_f16 v36, 0x3b76bbdd, v46, v60 op_sel_hi:[1,0,1]
	v_pk_add_f16 v28, v28, v30
	v_pk_add_f16 v11, v11, v31
	v_pk_fma_f16 v31, 0x372239e9, v48, v34 op_sel_hi:[1,0,1]
	v_pk_mul_f16 v37, 0xb836b5c8, v33 op_sel_hi:[1,0]
	v_pk_fma_f16 v38, 0x3b76bbdd, v46, v60 op_sel_hi:[1,0,1] neg_lo:[0,0,1] neg_hi:[0,0,1]
	v_pk_add_f16 v30, v36, v32
	v_pk_fma_f16 v32, 0x2de83722, v51, v41 op_sel_hi:[1,0,1] neg_lo:[0,0,1] neg_hi:[0,0,1]
	v_pk_add_f16 v31, v31, v11
	v_pk_fma_f16 v36, 0xbacd3b76, v53, v37 op_sel_hi:[1,0,1]
	v_pk_add_f16 v11, v38, v28
	v_pk_mul_f16 v28, 0xba62bbb2, v56 op_sel_hi:[1,0]
	v_pk_add_f16 v32, v32, v0 op_sel:[0,1]
	v_pk_fma_f16 v38, 0xbbddb8d2, v59, v61 op_sel_hi:[1,0,1] neg_lo:[0,0,1] neg_hi:[0,0,1]
	v_pk_add_f16 v31, v36, v31
	v_pk_mul_f16 v36, 0x3a62bbf7, v35 op_sel_hi:[1,0]
	v_pk_fma_f16 v39, 0xb8d2b461, v51, v28 op_sel_hi:[1,0,1]
	v_pk_mul_f16 v41, 0x3bb23836, v14 op_sel_hi:[1,0]
	v_pk_add_f16 v32, v38, v32
	v_pk_fma_f16 v38, 0xb461bbdd, v49, v62 op_sel_hi:[1,0,1] neg_lo:[0,0,1] neg_hi:[0,0,1]
	v_pk_fma_f16 v42, 0xb8d22de8, v47, v36 op_sel_hi:[1,0,1]
	v_pk_add_f16 v39, v39, v0 op_sel:[0,1]
	v_pk_fma_f16 v44, 0xb461bacd, v59, v41 op_sel_hi:[1,0,1]
	v_pk_mul_f16 v45, 0xb5c83964, v22 op_sel_hi:[1,0]
	v_pk_add_f16 v32, v38, v32
	v_pk_fma_f16 v38, 0x3b76b461, v54, v63 op_sel_hi:[1,0,1] neg_lo:[0,0,1] neg_hi:[0,0,1]
	v_pk_add_f16 v31, v42, v31
	v_pk_add_f16 v39, v44, v39
	v_pk_fma_f16 v42, 0x3b7639e9, v49, v45 op_sel_hi:[1,0,1]
	v_pk_mul_f16 v44, 0xb836bb29, v23 op_sel_hi:[1,0]
	v_pk_add_f16 v32, v38, v32
	v_pk_fma_f16 v34, 0x372239e9, v48, v34 op_sel_hi:[1,0,1] neg_lo:[0,0,1] neg_hi:[0,0,1]
	v_pk_mul_f16 v50, 0x3bf7b1e1, v52 op_sel_hi:[1,0]
	v_pk_add_f16 v39, v42, v39
	v_pk_fma_f16 v42, 0xbacd3722, v54, v44 op_sel_hi:[1,0,1]
	v_pk_mul_f16 v38, 0x3964b836, v43 op_sel_hi:[1,0]
	v_pk_add_f16 v32, v34, v32
	v_pk_fma_f16 v34, 0xbacd3b76, v53, v37 op_sel_hi:[1,0,1] neg_lo:[0,0,1] neg_hi:[0,0,1]
	v_pk_mul_f16 v55, 0xb9643bf7, v33 op_sel_hi:[1,0]
	v_pk_add_f16 v39, v42, v39
	v_pk_fma_f16 v42, 0x2de8bbdd, v48, v50 op_sel_hi:[1,0,1]
	v_pk_fma_f16 v28, 0xb8d2b461, v51, v28 op_sel_hi:[1,0,1] neg_lo:[0,0,1] neg_hi:[0,0,1]
	v_pk_fma_f16 v37, 0x39e9bacd, v46, v38 op_sel_hi:[1,0,1]
	v_pk_add_f16 v32, v34, v32
	v_pk_fma_f16 v34, 0xb8d22de8, v47, v36 op_sel_hi:[1,0,1] neg_lo:[0,0,1] neg_hi:[0,0,1]
	v_pk_add_f16 v36, v42, v39
	v_pk_fma_f16 v39, 0x39e92de8, v53, v55 op_sel_hi:[1,0,1]
	v_pk_add_f16 v28, v28, v0 op_sel:[0,1]
	v_pk_fma_f16 v41, 0xb461bacd, v59, v41 op_sel_hi:[1,0,1] neg_lo:[0,0,1] neg_hi:[0,0,1]
	v_pk_add_f16 v31, v37, v31
	v_pk_add_f16 v32, v34, v32
	;; [unrolled: 1-line block ×3, first 2 shown]
	v_pk_fma_f16 v37, 0x3b7639e9, v49, v45 op_sel_hi:[1,0,1] neg_lo:[0,0,1] neg_hi:[0,0,1]
	v_pk_add_f16 v28, v41, v28
	v_pk_mul_f16 v39, 0xb1e1b836, v56 op_sel_hi:[1,0]
	v_pk_mul_f16 v14, 0x35c83b29, v14 op_sel_hi:[1,0]
	;; [unrolled: 1-line block ×4, first 2 shown]
	v_pk_add_f16 v28, v37, v28
	v_pk_fma_f16 v37, 0xbacd3722, v54, v44 op_sel_hi:[1,0,1] neg_lo:[0,0,1] neg_hi:[0,0,1]
	v_pk_fma_f16 v41, 0xbbddbacd, v51, v39 op_sel_hi:[1,0,1] neg_lo:[0,0,1] neg_hi:[0,0,1]
	v_pk_fma_f16 v39, 0xbbddbacd, v51, v39 op_sel_hi:[1,0,1]
	v_pk_mul_f16 v42, 0xb1e1b5c8, v35 op_sel_hi:[1,0]
	v_pk_mul_f16 v33, 0x3b29b1e1, v33 op_sel_hi:[1,0]
	v_pk_add_f16 v28, v37, v28
	v_pk_add_f16 v37, v41, v0 op_sel:[0,1]
	v_pk_fma_f16 v41, 0x3b763722, v59, v14 op_sel_hi:[1,0,1] neg_lo:[0,0,1] neg_hi:[0,0,1]
	v_pk_add_f16 v0, v39, v0 op_sel:[0,1]
	v_pk_fma_f16 v14, 0x3b763722, v59, v14 op_sel_hi:[1,0,1]
	v_pk_fma_f16 v39, 0x2de8bbdd, v48, v50 op_sel_hi:[1,0,1] neg_lo:[0,0,1] neg_hi:[0,0,1]
	v_pk_fma_f16 v36, 0xbbdd3b76, v47, v42 op_sel_hi:[1,0,1]
	v_pk_add_f16 v37, v41, v37
	v_pk_fma_f16 v41, 0xbacd2de8, v49, v22 op_sel_hi:[1,0,1] neg_lo:[0,0,1] neg_hi:[0,0,1]
	v_pk_add_f16 v0, v14, v0
	v_pk_fma_f16 v14, 0xbacd2de8, v49, v22 op_sel_hi:[1,0,1]
	v_pk_add_f16 v22, v39, v28
	v_pk_mul_f16 v39, 0xba62b5c8, v52 op_sel_hi:[1,0]
	v_pk_add_f16 v28, v41, v37
	v_pk_fma_f16 v37, 0x39e9b8d2, v54, v23 op_sel_hi:[1,0,1] neg_lo:[0,0,1] neg_hi:[0,0,1]
	v_pk_add_f16 v0, v14, v0
	v_pk_fma_f16 v14, 0x39e9b8d2, v54, v23 op_sel_hi:[1,0,1]
	v_pk_fma_f16 v23, 0x39e92de8, v53, v55 op_sel_hi:[1,0,1] neg_lo:[0,0,1] neg_hi:[0,0,1]
	v_pk_mul_f16 v35, 0xbbb23964, v35 op_sel_hi:[1,0]
	v_pk_add_f16 v28, v37, v28
	v_pk_fma_f16 v37, 0xb8d23b76, v48, v39 op_sel_hi:[1,0,1] neg_lo:[0,0,1] neg_hi:[0,0,1]
	v_pk_add_f16 v0, v14, v0
	v_pk_fma_f16 v14, 0xb8d23b76, v48, v39 op_sel_hi:[1,0,1]
	v_pk_add_f16 v22, v23, v22
	v_pk_add_f16 v34, v36, v34
	;; [unrolled: 1-line block ×3, first 2 shown]
	v_pk_fma_f16 v28, 0x3722bbdd, v53, v33 op_sel_hi:[1,0,1] neg_lo:[0,0,1] neg_hi:[0,0,1]
	v_pk_add_f16 v0, v14, v0
	v_pk_fma_f16 v14, 0x3722bbdd, v53, v33 op_sel_hi:[1,0,1]
	v_pk_mul_f16 v36, 0x3b29ba62, v43 op_sel_hi:[1,0]
	v_pk_fma_f16 v33, 0xbbdd3b76, v47, v42 op_sel_hi:[1,0,1] neg_lo:[0,0,1] neg_hi:[0,0,1]
	v_pk_add_f16 v23, v28, v23
	v_pk_fma_f16 v28, 0xb46139e9, v47, v35 op_sel_hi:[1,0,1] neg_lo:[0,0,1] neg_hi:[0,0,1]
	v_pk_mul_f16 v37, 0x3bf7bbb2, v43 op_sel_hi:[1,0]
	v_pk_add_f16 v0, v14, v0
	v_pk_fma_f16 v14, 0xb46139e9, v47, v35 op_sel_hi:[1,0,1]
	v_pk_fma_f16 v38, 0x39e9bacd, v46, v38 op_sel_hi:[1,0,1] neg_lo:[0,0,1] neg_hi:[0,0,1]
	v_pk_add_f16 v22, v33, v22
	v_pk_add_f16 v23, v28, v23
	v_pk_fma_f16 v28, 0x2de8b461, v46, v37 op_sel_hi:[1,0,1] neg_lo:[0,0,1] neg_hi:[0,0,1]
	v_pk_fma_f16 v33, 0x3722b8d2, v46, v36 op_sel_hi:[1,0,1] neg_lo:[0,0,1] neg_hi:[0,0,1]
	v_pk_fma_f16 v44, 0x3722b8d2, v46, v36 op_sel_hi:[1,0,1]
	v_pk_add_f16 v0, v14, v0
	v_pk_fma_f16 v14, 0x2de8b461, v46, v37 op_sel_hi:[1,0,1]
	v_pk_add_f16 v36, v38, v32
	v_pk_add_f16 v23, v28, v23
	;; [unrolled: 1-line block ×5, first 2 shown]
	v_alignbit_b32 v36, v36, v36, 16
	v_alignbit_b32 v34, v23, v23, 16
	;; [unrolled: 1-line block ×4, first 2 shown]
	s_waitcnt lgkmcnt(0)
	s_barrier
	buffer_gl0_inv
	ds_write_b16 v57, v26
	ds_write_b128 v57, v[30:33] offset:2
	ds_write_b128 v57, v[34:37] offset:18
	s_waitcnt lgkmcnt(0)
	s_barrier
	buffer_gl0_inv
	ds_read_u16 v33, v21
	ds_read_u16 v34, v17 offset:136
	ds_read_u16 v35, v17 offset:272
	;; [unrolled: 1-line block ×15, first 2 shown]
                                        ; implicit-def: $vgpr37
	s_and_saveexec_b32 s1, s0
	s_cbranch_execz .LBB0_14
; %bb.13:
	ds_read_u16 v11, v17 offset:1088
	ds_read_u16 v37, v17 offset:2244
.LBB0_14:
	s_or_b32 exec_lo, exec_lo, s1
	v_add_nc_u16 v26, v16, 0x44
	v_add_nc_u16 v28, v16, 0x88
	v_add_nc_u32_e32 v46, 0xcc, v16
	v_mov_b32_e32 v49, 0xf0f1
	v_and_b32_e32 v22, 0xff, v16
	v_and_b32_e32 v23, 0xff, v26
	;; [unrolled: 1-line block ×3, first 2 shown]
	v_add_nc_u32_e32 v47, 0x110, v16
	v_mul_u32_u24_sdwa v52, v46, v49 dst_sel:DWORD dst_unused:UNUSED_PAD src0_sel:WORD_0 src1_sel:DWORD
	v_mul_lo_u16 v22, 0xf1, v22
	v_mul_lo_u16 v51, 0xf1, v23
	;; [unrolled: 1-line block ×3, first 2 shown]
	v_add_nc_u32_e32 v50, 0x154, v16
	v_lshrrev_b32_e32 v52, 20, v52
	v_lshrrev_b16 v56, 12, v22
	v_lshrrev_b16 v51, 12, v51
	;; [unrolled: 1-line block ×3, first 2 shown]
	v_add_nc_u32_e32 v23, 0x198, v16
	v_mul_lo_u16 v55, v52, 17
	v_add_nc_u32_e32 v22, 0x1dc, v16
	v_mul_lo_u16 v53, v51, 17
	v_mul_lo_u16 v54, v57, 17
	;; [unrolled: 1-line block ×3, first 2 shown]
	v_sub_nc_u16 v62, v46, v55
	v_mul_u32_u24_sdwa v55, v47, v49 dst_sel:DWORD dst_unused:UNUSED_PAD src0_sel:WORD_0 src1_sel:DWORD
	v_sub_nc_u16 v60, v26, v53
	v_add_nc_u32_e32 v26, 0x220, v16
	v_sub_nc_u16 v63, v28, v54
	v_mul_u32_u24_sdwa v61, v50, v49 dst_sel:DWORD dst_unused:UNUSED_PAD src0_sel:WORD_0 src1_sel:DWORD
	v_mul_u32_u24_sdwa v64, v23, v49 dst_sel:DWORD dst_unused:UNUSED_PAD src0_sel:WORD_0 src1_sel:DWORD
	v_mov_b32_e32 v58, 2
	v_mul_u32_u24_sdwa v54, v26, v49 dst_sel:DWORD dst_unused:UNUSED_PAD src0_sel:WORD_0 src1_sel:DWORD
	v_mul_u32_u24_sdwa v49, v22, v49 dst_sel:DWORD dst_unused:UNUSED_PAD src0_sel:WORD_0 src1_sel:DWORD
	v_sub_nc_u16 v59, v16, v48
	v_lshrrev_b32_e32 v67, 20, v55
	v_lshrrev_b32_e32 v68, 20, v61
	;; [unrolled: 1-line block ×5, first 2 shown]
	v_lshlrev_b32_sdwa v28, v58, v59 dst_sel:DWORD dst_unused:UNUSED_PAD src0_sel:DWORD src1_sel:BYTE_0
	v_mul_lo_u16 v54, v67, 17
	v_mul_lo_u16 v49, v66, 17
	v_mul_lo_u16 v55, v68, 17
	v_mul_lo_u16 v61, v64, 17
	v_mul_lo_u16 v65, v69, 17
	v_sub_nc_u16 v70, v47, v54
	v_sub_nc_u16 v49, v26, v49
	;; [unrolled: 1-line block ×3, first 2 shown]
	global_load_dword v55, v28, s[8:9]
	v_lshlrev_b32_sdwa v46, v58, v60 dst_sel:DWORD dst_unused:UNUSED_PAD src0_sel:DWORD src1_sel:BYTE_0
	v_sub_nc_u16 v72, v23, v61
	v_sub_nc_u16 v73, v22, v65
	v_and_b32_e32 v74, 0xffff, v49
	v_lshlrev_b32_sdwa v48, v58, v63 dst_sel:DWORD dst_unused:UNUSED_PAD src0_sel:DWORD src1_sel:BYTE_0
	v_lshlrev_b32_sdwa v53, v58, v62 dst_sel:DWORD dst_unused:UNUSED_PAD src0_sel:DWORD src1_sel:WORD_0
	v_lshlrev_b32_sdwa v28, v58, v70 dst_sel:DWORD dst_unused:UNUSED_PAD src0_sel:DWORD src1_sel:WORD_0
	;; [unrolled: 1-line block ×5, first 2 shown]
	v_lshlrev_b32_e32 v75, 2, v74
	s_clause 0x7
	global_load_dword v61, v46, s[8:9]
	global_load_dword v49, v48, s[8:9]
	;; [unrolled: 1-line block ×8, first 2 shown]
	v_mov_b32_e32 v65, 1
	v_lshlrev_b32_e32 v28, 1, v40
	v_and_b32_e32 v40, 0xffff, v56
	v_mad_u32_u24 v58, 0x44, v68, 0
	v_and_b32_e32 v68, 0xffff, v51
	v_and_b32_e32 v57, 0xffff, v57
	v_lshlrev_b32_sdwa v59, v65, v59 dst_sel:DWORD dst_unused:UNUSED_PAD src0_sel:DWORD src1_sel:BYTE_0
	v_mad_u32_u24 v40, 0x44, v40, 0
	v_mad_u32_u24 v56, 0x44, v67, 0
	;; [unrolled: 1-line block ×3, first 2 shown]
	v_lshlrev_b32_sdwa v69, v65, v70 dst_sel:DWORD dst_unused:UNUSED_PAD src0_sel:DWORD src1_sel:WORD_0
	v_lshlrev_b32_sdwa v70, v65, v71 dst_sel:DWORD dst_unused:UNUSED_PAD src0_sel:DWORD src1_sel:WORD_0
	v_lshlrev_b32_sdwa v71, v65, v72 dst_sel:DWORD dst_unused:UNUSED_PAD src0_sel:DWORD src1_sel:WORD_0
	v_lshlrev_b32_sdwa v72, v65, v73 dst_sel:DWORD dst_unused:UNUSED_PAD src0_sel:DWORD src1_sel:WORD_0
	v_mad_u32_u24 v52, 0x44, v52, 0
	v_mad_u32_u24 v64, 0x44, v64, 0
	v_mul_lo_u16 v51, v66, 34
	v_mad_u32_u24 v66, 0x44, v68, 0
	v_mad_u32_u24 v68, 0x44, v57, 0
	v_lshlrev_b32_sdwa v57, v65, v62 dst_sel:DWORD dst_unused:UNUSED_PAD src0_sel:DWORD src1_sel:WORD_0
	v_add3_u32 v62, v40, v59, v28
	v_lshlrev_b32_sdwa v40, v65, v60 dst_sel:DWORD dst_unused:UNUSED_PAD src0_sel:DWORD src1_sel:BYTE_0
	v_add3_u32 v59, v56, v69, v28
	v_add3_u32 v56, v67, v72, v28
	v_lshlrev_b32_sdwa v63, v65, v63 dst_sel:DWORD dst_unused:UNUSED_PAD src0_sel:DWORD src1_sel:BYTE_0
	v_add3_u32 v60, v52, v57, v28
	v_add3_u32 v57, v64, v71, v28
	;; [unrolled: 1-line block ×5, first 2 shown]
	v_lshl_add_u32 v52, v74, 1, 0
	s_waitcnt vmcnt(0) lgkmcnt(0)
	s_barrier
	buffer_gl0_inv
	v_mul_f16_sdwa v67, v44, v55 dst_sel:DWORD dst_unused:UNUSED_PAD src0_sel:DWORD src1_sel:WORD_1
	v_mul_f16_sdwa v66, v45, v61 dst_sel:DWORD dst_unused:UNUSED_PAD src0_sel:DWORD src1_sel:WORD_1
	v_fma_f16 v40, v10, v55, -v67
	v_mul_f16_sdwa v67, v39, v49 dst_sel:DWORD dst_unused:UNUSED_PAD src0_sel:DWORD src1_sel:WORD_1
	v_mul_f16_sdwa v68, v41, v50 dst_sel:DWORD dst_unused:UNUSED_PAD src0_sel:DWORD src1_sel:WORD_1
	;; [unrolled: 1-line block ×7, first 2 shown]
	v_fma_f16 v66, v9, v61, -v66
	v_fma_f16 v67, v8, v49, -v67
	;; [unrolled: 1-line block ×4, first 2 shown]
	v_sub_f16_e32 v40, v24, v40
	v_fma_f16 v70, v5, v54, -v70
	v_fma_f16 v71, v4, v48, -v71
	;; [unrolled: 1-line block ×4, first 2 shown]
	v_sub_f16_e32 v66, v12, v66
	v_sub_f16_e32 v67, v13, v67
	v_fma_f16 v74, v24, 2.0, -v40
	v_sub_f16_e32 v68, v15, v68
	v_sub_f16_e32 v69, v20, v69
	;; [unrolled: 1-line block ×6, first 2 shown]
	v_fma_f16 v12, v12, 2.0, -v66
	v_fma_f16 v13, v13, 2.0, -v67
	ds_write_b16 v62, v40 offset:34
	v_fma_f16 v15, v15, 2.0, -v68
	v_fma_f16 v20, v20, 2.0, -v69
	;; [unrolled: 1-line block ×5, first 2 shown]
	ds_write_b16 v62, v74
	ds_write_b16 v64, v66 offset:34
	ds_write_b16 v64, v12
	ds_write_b16 v63, v13
	ds_write_b16 v63, v67 offset:34
	ds_write_b16 v60, v15
	ds_write_b16 v60, v68 offset:34
	;; [unrolled: 2-line block ×6, first 2 shown]
	s_and_saveexec_b32 s1, s0
	s_cbranch_execz .LBB0_16
; %bb.15:
	v_lshlrev_b32_sdwa v12, v65, v51 dst_sel:DWORD dst_unused:UNUSED_PAD src0_sel:DWORD src1_sel:WORD_0
	v_fma_f16 v1, v1, 2.0, -v24
	v_add3_u32 v12, v52, v12, v28
	ds_write_b16 v12, v1
	ds_write_b16 v12, v24 offset:34
.LBB0_16:
	s_or_b32 exec_lo, exec_lo, s1
	v_mul_f16_sdwa v8, v8, v49 dst_sel:DWORD dst_unused:UNUSED_PAD src0_sel:DWORD src1_sel:WORD_1
	v_mul_f16_sdwa v5, v5, v54 dst_sel:DWORD dst_unused:UNUSED_PAD src0_sel:DWORD src1_sel:WORD_1
	;; [unrolled: 1-line block ×5, first 2 shown]
	v_fmac_f16_e32 v8, v39, v49
	v_fmac_f16_e32 v5, v43, v54
	v_mul_f16_sdwa v6, v6, v53 dst_sel:DWORD dst_unused:UNUSED_PAD src0_sel:DWORD src1_sel:WORD_1
	v_mul_f16_sdwa v4, v4, v48 dst_sel:DWORD dst_unused:UNUSED_PAD src0_sel:DWORD src1_sel:WORD_1
	;; [unrolled: 1-line block ×4, first 2 shown]
	v_sub_f16_e32 v8, v35, v8
	v_sub_f16_e32 v5, v30, v5
	v_lshlrev_b32_e32 v27, 1, v16
	v_fmac_f16_e32 v1, v44, v55
	v_fmac_f16_e32 v9, v45, v61
	;; [unrolled: 1-line block ×7, first 2 shown]
	v_fma_f16 v13, v35, 2.0, -v8
	v_fma_f16 v15, v30, 2.0, -v5
	s_waitcnt lgkmcnt(0)
	s_barrier
	buffer_gl0_inv
	v_add3_u32 v27, 0, v27, v28
	ds_read_u16 v30, v21
	ds_read_u16 v50, v17 offset:136
	ds_read_u16 v49, v17 offset:272
	;; [unrolled: 1-line block ×16, first 2 shown]
	v_sub_f16_e32 v1, v33, v1
	v_sub_f16_e32 v9, v34, v9
	v_sub_f16_e32 v7, v0, v7
	v_sub_f16_e32 v6, v14, v6
	v_sub_f16_e32 v4, v31, v4
	v_fma_f16 v10, v33, 2.0, -v1
	v_sub_f16_e32 v2, v32, v2
	v_sub_f16_e32 v25, v11, v3
	v_fma_f16 v12, v34, 2.0, -v9
	v_fma_f16 v0, v0, 2.0, -v7
	;; [unrolled: 1-line block ×5, first 2 shown]
	s_waitcnt lgkmcnt(0)
	s_barrier
	buffer_gl0_inv
	ds_write_b16 v62, v10
	ds_write_b16 v62, v1 offset:34
	ds_write_b16 v64, v12
	ds_write_b16 v64, v9 offset:34
	;; [unrolled: 2-line block ×8, first 2 shown]
	s_and_saveexec_b32 s1, s0
	s_cbranch_execz .LBB0_18
; %bb.17:
	v_mov_b32_e32 v0, 1
	v_fma_f16 v1, v11, 2.0, -v25
	v_lshlrev_b32_sdwa v0, v0, v51 dst_sel:DWORD dst_unused:UNUSED_PAD src0_sel:DWORD src1_sel:WORD_0
	v_add3_u32 v0, v52, v0, v28
	ds_write_b16 v0, v1
	ds_write_b16 v0, v25 offset:34
.LBB0_18:
	s_or_b32 exec_lo, exec_lo, s1
	v_subrev_nc_u32_e32 v20, 34, v16
	v_mov_b32_e32 v1, 0
	s_waitcnt lgkmcnt(0)
	s_barrier
	buffer_gl0_inv
	v_cndmask_b32_e64 v29, v20, v16, s0
	v_lshlrev_b32_e32 v0, 4, v29
	v_lshlrev_b32_e32 v29, 1, v29
	v_lshlrev_b64 v[0:1], 2, v[0:1]
	v_add_co_u32 v12, s1, s8, v0
	v_add_co_ci_u32_e64 v13, s1, s9, v1, s1
	v_cmp_lt_u32_e64 s1, 33, v16
	s_clause 0x3
	global_load_dwordx4 v[0:3], v[12:13], off offset:68
	global_load_dwordx4 v[4:7], v[12:13], off offset:84
	;; [unrolled: 1-line block ×4, first 2 shown]
	ds_read_u16 v70, v17 offset:136
	ds_read_u16 v69, v17 offset:272
	;; [unrolled: 1-line block ×16, first 2 shown]
	ds_read_u16 v75, v21
	s_waitcnt vmcnt(0) lgkmcnt(0)
	s_barrier
	buffer_gl0_inv
	v_mul_f16_sdwa v79, v50, v0 dst_sel:DWORD dst_unused:UNUSED_PAD src0_sel:DWORD src1_sel:WORD_1
	v_mul_f16_sdwa v78, v49, v1 dst_sel:DWORD dst_unused:UNUSED_PAD src0_sel:DWORD src1_sel:WORD_1
	v_mul_f16_sdwa v73, v48, v2 dst_sel:DWORD dst_unused:UNUSED_PAD src0_sel:DWORD src1_sel:WORD_1
	v_mul_f16_sdwa v71, v47, v3 dst_sel:DWORD dst_unused:UNUSED_PAD src0_sel:DWORD src1_sel:WORD_1
	v_mul_f16_sdwa v53, v46, v4 dst_sel:DWORD dst_unused:UNUSED_PAD src0_sel:DWORD src1_sel:WORD_1
	v_mul_f16_sdwa v51, v45, v5 dst_sel:DWORD dst_unused:UNUSED_PAD src0_sel:DWORD src1_sel:WORD_1
	v_mul_f16_sdwa v33, v44, v6 dst_sel:DWORD dst_unused:UNUSED_PAD src0_sel:DWORD src1_sel:WORD_1
	v_mul_f16_sdwa v34, v41, v9 dst_sel:DWORD dst_unused:UNUSED_PAD src0_sel:DWORD src1_sel:WORD_1
	v_mul_f16_sdwa v52, v40, v10 dst_sel:DWORD dst_unused:UNUSED_PAD src0_sel:DWORD src1_sel:WORD_1
	v_mul_f16_sdwa v54, v39, v11 dst_sel:DWORD dst_unused:UNUSED_PAD src0_sel:DWORD src1_sel:WORD_1
	v_mul_f16_sdwa v72, v37, v12 dst_sel:DWORD dst_unused:UNUSED_PAD src0_sel:DWORD src1_sel:WORD_1
	v_mul_f16_sdwa v74, v36, v13 dst_sel:DWORD dst_unused:UNUSED_PAD src0_sel:DWORD src1_sel:WORD_1
	v_mul_f16_sdwa v77, v35, v14 dst_sel:DWORD dst_unused:UNUSED_PAD src0_sel:DWORD src1_sel:WORD_1
	v_mul_f16_sdwa v76, v38, v15 dst_sel:DWORD dst_unused:UNUSED_PAD src0_sel:DWORD src1_sel:WORD_1
	v_mul_f16_sdwa v80, v70, v0 dst_sel:DWORD dst_unused:UNUSED_PAD src0_sel:DWORD src1_sel:WORD_1
	v_mul_f16_sdwa v81, v69, v1 dst_sel:DWORD dst_unused:UNUSED_PAD src0_sel:DWORD src1_sel:WORD_1
	v_mul_f16_sdwa v82, v68, v2 dst_sel:DWORD dst_unused:UNUSED_PAD src0_sel:DWORD src1_sel:WORD_1
	v_mul_f16_sdwa v83, v67, v3 dst_sel:DWORD dst_unused:UNUSED_PAD src0_sel:DWORD src1_sel:WORD_1
	v_mul_f16_sdwa v84, v66, v4 dst_sel:DWORD dst_unused:UNUSED_PAD src0_sel:DWORD src1_sel:WORD_1
	v_mul_f16_sdwa v85, v65, v5 dst_sel:DWORD dst_unused:UNUSED_PAD src0_sel:DWORD src1_sel:WORD_1
	v_mul_f16_sdwa v86, v64, v6 dst_sel:DWORD dst_unused:UNUSED_PAD src0_sel:DWORD src1_sel:WORD_1
	v_mul_f16_sdwa v87, v63, v7 dst_sel:DWORD dst_unused:UNUSED_PAD src0_sel:DWORD src1_sel:WORD_1
	v_mul_f16_sdwa v31, v43, v7 dst_sel:DWORD dst_unused:UNUSED_PAD src0_sel:DWORD src1_sel:WORD_1
	v_mul_f16_sdwa v88, v62, v8 dst_sel:DWORD dst_unused:UNUSED_PAD src0_sel:DWORD src1_sel:WORD_1
	v_mul_f16_sdwa v89, v61, v9 dst_sel:DWORD dst_unused:UNUSED_PAD src0_sel:DWORD src1_sel:WORD_1
	v_mul_f16_sdwa v90, v60, v10 dst_sel:DWORD dst_unused:UNUSED_PAD src0_sel:DWORD src1_sel:WORD_1
	v_mul_f16_sdwa v91, v59, v11 dst_sel:DWORD dst_unused:UNUSED_PAD src0_sel:DWORD src1_sel:WORD_1
	v_mul_f16_sdwa v92, v57, v12 dst_sel:DWORD dst_unused:UNUSED_PAD src0_sel:DWORD src1_sel:WORD_1
	v_mul_f16_sdwa v93, v55, v13 dst_sel:DWORD dst_unused:UNUSED_PAD src0_sel:DWORD src1_sel:WORD_1
	v_mul_f16_sdwa v94, v56, v14 dst_sel:DWORD dst_unused:UNUSED_PAD src0_sel:DWORD src1_sel:WORD_1
	v_mul_f16_sdwa v95, v58, v15 dst_sel:DWORD dst_unused:UNUSED_PAD src0_sel:DWORD src1_sel:WORD_1
	v_fmac_f16_e32 v79, v70, v0
	v_fmac_f16_e32 v78, v69, v1
	;; [unrolled: 1-line block ×14, first 2 shown]
	v_mul_f16_sdwa v32, v42, v8 dst_sel:DWORD dst_unused:UNUSED_PAD src0_sel:DWORD src1_sel:WORD_1
	v_fma_f16 v50, v50, v0, -v80
	v_fma_f16 v49, v49, v1, -v81
	v_fma_f16 v48, v48, v2, -v82
	v_fma_f16 v47, v47, v3, -v83
	v_fma_f16 v46, v46, v4, -v84
	v_fma_f16 v45, v45, v5, -v85
	v_fma_f16 v2, v44, v6, -v86
	v_fma_f16 v0, v43, v7, -v87
	v_fmac_f16_e32 v31, v63, v7
	v_fma_f16 v1, v42, v8, -v88
	v_fma_f16 v3, v41, v9, -v89
	;; [unrolled: 1-line block ×8, first 2 shown]
	v_sub_f16_e32 v5, v79, v76
	v_sub_f16_e32 v7, v78, v77
	;; [unrolled: 1-line block ×7, first 2 shown]
	v_fmac_f16_e32 v32, v62, v8
	v_add_f16_e32 v4, v50, v43
	v_add_f16_e32 v6, v49, v42
	v_add_f16_e32 v8, v48, v41
	v_add_f16_e32 v11, v47, v37
	v_add_f16_e32 v13, v46, v39
	v_add_f16_e32 v15, v45, v40
	v_add_f16_e32 v36, v2, v3
	v_mul_f16_e32 v38, 0xb5c8, v5
	v_mul_f16_e32 v44, 0xb964, v5
	;; [unrolled: 1-line block ×56, first 2 shown]
	v_fma_f16 v111, v4, 0x3b76, -v38
	v_fmac_f16_e32 v38, 0x3b76, v4
	v_fma_f16 v112, v4, 0x39e9, -v44
	v_fmac_f16_e32 v44, 0x39e9, v4
	;; [unrolled: 2-line block ×56, first 2 shown]
	v_add_f16_e32 v36, v30, v50
	v_add_f16_e32 v5, v30, v5
	;; [unrolled: 1-line block ×65, first 2 shown]
	v_sub_f16_e32 v30, v31, v32
	v_add_f16_e32 v69, v130, v116
	v_add_f16_e32 v70, v131, v117
	;; [unrolled: 1-line block ×18, first 2 shown]
	v_mul_f16_e32 v60, 0xb1e1, v30
	v_mul_f16_e32 v119, 0x35c8, v30
	;; [unrolled: 1-line block ×5, first 2 shown]
	v_add_f16_e32 v67, v137, v69
	v_add_f16_e32 v68, v138, v70
	;; [unrolled: 1-line block ×17, first 2 shown]
	v_mul_f16_e32 v121, 0x3b29, v30
	v_fma_f16 v63, v111, 0xbbdd, -v60
	v_fmac_f16_e32 v60, 0xbbdd, v111
	v_fma_f16 v122, v111, 0x3b76, -v119
	v_fmac_f16_e32 v119, 0x3b76, v111
	;; [unrolled: 2-line block ×5, first 2 shown]
	v_add_f16_e32 v56, v144, v67
	v_add_f16_e32 v58, v145, v68
	;; [unrolled: 1-line block ×17, first 2 shown]
	v_fma_f16 v124, v111, 0x3722, -v121
	v_add_f16_e32 v44, v151, v56
	v_add_f16_e32 v56, v152, v58
	;; [unrolled: 1-line block ×17, first 2 shown]
	v_fmac_f16_e32 v121, 0x3722, v111
	v_mul_f16_e32 v15, 0xbbb2, v30
	v_cndmask_b32_e64 v57, 0, 0x484, s1
	v_mul_f16_e32 v30, 0x3bf7, v30
	v_add_f16_e32 v36, v158, v44
	v_add_f16_e32 v44, v159, v56
	;; [unrolled: 1-line block ×5, first 2 shown]
	v_fma_f16 v38, v111, 0xb461, -v15
	v_add_nc_u32_e32 v57, 0, v57
	v_fmac_f16_e32 v15, 0xb461, v111
	v_fma_f16 v59, v111, 0x2de8, -v30
	v_fmac_f16_e32 v30, 0x2de8, v111
	v_add_f16_e32 v7, v7, v43
	v_add_f16_e32 v44, v38, v44
	v_add3_u32 v38, v57, v29, v28
	v_add_f16_e32 v36, v124, v36
	v_add_f16_e32 v15, v15, v55
	;; [unrolled: 1-line block ×4, first 2 shown]
	ds_write_b16 v38, v7
	ds_write_b16 v38, v35 offset:68
	ds_write_b16 v38, v6 offset:136
	;; [unrolled: 1-line block ×16, first 2 shown]
	s_waitcnt lgkmcnt(0)
	s_barrier
	buffer_gl0_inv
	ds_read_u16 v5, v21
	ds_read_u16 v6, v17 offset:136
	ds_read_u16 v7, v17 offset:272
	;; [unrolled: 1-line block ×15, first 2 shown]
	s_and_saveexec_b32 s1, s0
	s_cbranch_execz .LBB0_20
; %bb.19:
	ds_read_u16 v4, v27 offset:1088
	ds_read_u16 v24, v17 offset:2244
.LBB0_20:
	s_or_b32 exec_lo, exec_lo, s1
	v_sub_f16_e32 v43, v50, v43
	v_add_f16_e32 v50, v79, v76
	v_sub_f16_e32 v42, v49, v42
	v_add_f16_e32 v44, v75, v79
	v_add_f16_e32 v55, v78, v77
	v_mul_f16_e32 v49, 0xb5c8, v43
	v_mul_f16_e32 v56, 0xb964, v43
	v_mul_f16_e32 v57, 0xbb29, v43
	v_mul_f16_e32 v58, 0xbbf7, v43
	v_mul_f16_e32 v59, 0xbbb2, v43
	v_mul_f16_e32 v60, 0xba62, v43
	v_mul_f16_e32 v61, 0xb836, v43
	v_mul_f16_e32 v43, 0xb1e1, v43
	v_mul_f16_e32 v62, 0xb964, v42
	v_mul_f16_e32 v63, 0xbbf7, v42
	v_mul_f16_e32 v64, 0xba62, v42
	v_fmamk_f16 v67, v50, 0x3b76, v49
	v_fma_f16 v49, v50, 0x3b76, -v49
	v_fmamk_f16 v68, v50, 0x39e9, v56
	v_fmamk_f16 v69, v50, 0x3722, v57
	v_fma_f16 v57, v50, 0x3722, -v57
	v_add_f16_e32 v44, v44, v78
	v_mul_f16_e32 v65, 0xb1e1, v42
	v_mul_f16_e32 v66, 0x3836, v42
	v_fma_f16 v56, v50, 0x39e9, -v56
	v_fmamk_f16 v70, v50, 0x2de8, v58
	v_fma_f16 v58, v50, 0x2de8, -v58
	v_fmamk_f16 v78, v50, 0xb461, v59
	;; [unrolled: 2-line block ×7, first 2 shown]
	v_fmamk_f16 v83, v55, 0xb8d2, v64
	v_fma_f16 v64, v55, 0xb8d2, -v64
	v_add_f16_e32 v67, v75, v67
	v_add_f16_e32 v49, v75, v49
	;; [unrolled: 1-line block ×9, first 2 shown]
	v_fmamk_f16 v67, v55, 0xbbdd, v65
	v_add_f16_e32 v57, v64, v57
	v_fma_f16 v64, v55, 0xbbdd, -v65
	v_mul_f16_e32 v65, 0x3bb2, v42
	v_fmamk_f16 v68, v55, 0xbacd, v66
	v_fma_f16 v66, v55, 0xbacd, -v66
	v_fma_f16 v63, v55, 0x2de8, -v63
	v_add_f16_e32 v56, v75, v56
	v_add_f16_e32 v69, v75, v69
	;; [unrolled: 1-line block ×5, first 2 shown]
	v_fmamk_f16 v64, v55, 0xb461, v65
	v_fma_f16 v65, v55, 0xb461, -v65
	v_add_f16_e32 v59, v66, v59
	v_mul_f16_e32 v66, 0x3b29, v42
	v_mul_f16_e32 v42, 0x35c8, v42
	v_sub_f16_e32 v41, v48, v41
	v_add_f16_e32 v61, v75, v61
	v_add_f16_e32 v81, v75, v81
	;; [unrolled: 1-line block ×6, first 2 shown]
	v_fmamk_f16 v48, v55, 0x3722, v66
	v_fma_f16 v65, v55, 0x3722, -v66
	v_fmamk_f16 v66, v55, 0x3b76, v42
	v_add_f16_e32 v69, v73, v74
	v_mul_f16_e32 v70, 0xbb29, v41
	v_add_f16_e32 v43, v75, v43
	v_fma_f16 v42, v55, 0x3b76, -v42
	v_add_f16_e32 v55, v65, v61
	v_add_f16_e32 v61, v66, v81
	v_fmamk_f16 v65, v69, 0x3722, v70
	v_mul_f16_e32 v66, 0xba62, v41
	v_add_f16_e32 v42, v42, v43
	v_fma_f16 v43, v69, 0x3722, -v70
	v_mul_f16_e32 v70, 0x31e1, v41
	v_add_f16_e32 v50, v65, v50
	v_fmamk_f16 v65, v69, 0xb8d2, v66
	v_add_f16_e32 v44, v44, v73
	v_fma_f16 v66, v69, 0xb8d2, -v66
	v_add_f16_e32 v43, v43, v49
	v_fmamk_f16 v49, v69, 0xbbdd, v70
	v_mul_f16_e32 v73, 0x3bb2, v41
	v_add_f16_e32 v62, v65, v62
	v_fma_f16 v65, v69, 0xbbdd, -v70
	v_add_f16_e32 v44, v44, v71
	v_add_f16_e32 v56, v66, v56
	;; [unrolled: 1-line block ×3, first 2 shown]
	v_fmamk_f16 v63, v69, 0xb461, v73
	v_mul_f16_e32 v66, 0x3964, v41
	v_fma_f16 v70, v69, 0xb461, -v73
	v_add_f16_e32 v57, v65, v57
	v_mul_f16_e32 v65, 0xb5c8, v41
	v_add_f16_e32 v44, v44, v53
	v_add_f16_e32 v78, v75, v78
	;; [unrolled: 1-line block ×4, first 2 shown]
	v_fmamk_f16 v67, v69, 0x39e9, v66
	v_add_f16_e32 v58, v70, v58
	v_fma_f16 v66, v69, 0x39e9, -v66
	v_fmamk_f16 v70, v69, 0x3b76, v65
	v_mul_f16_e32 v73, 0xbbf7, v41
	v_fma_f16 v65, v69, 0x3b76, -v65
	v_mul_f16_e32 v41, 0xb836, v41
	v_add_f16_e32 v44, v44, v51
	v_add_f16_e32 v68, v68, v78
	;; [unrolled: 1-line block ×4, first 2 shown]
	v_fmamk_f16 v66, v69, 0x2de8, v73
	v_add_f16_e32 v60, v65, v60
	v_sub_f16_e32 v37, v47, v37
	v_fma_f16 v47, v69, 0x2de8, -v73
	v_fmamk_f16 v65, v69, 0xbacd, v41
	v_add_f16_e32 v44, v44, v33
	v_add_f16_e32 v67, v67, v68
	;; [unrolled: 1-line block ×4, first 2 shown]
	v_mul_f16_e32 v68, 0xbbf7, v37
	v_add_f16_e32 v47, v47, v55
	v_fma_f16 v41, v69, 0xbacd, -v41
	v_add_f16_e32 v55, v65, v61
	v_mul_f16_e32 v61, 0xb1e1, v37
	v_add_f16_e32 v44, v44, v31
	v_fmamk_f16 v65, v66, 0x2de8, v68
	v_fma_f16 v68, v66, 0x2de8, -v68
	v_add_f16_e32 v41, v41, v42
	v_mul_f16_e32 v42, 0x3bb2, v37
	v_fmamk_f16 v69, v66, 0xbbdd, v61
	v_fma_f16 v61, v66, 0xbbdd, -v61
	v_add_f16_e32 v44, v44, v32
	v_add_f16_e32 v79, v75, v79
	;; [unrolled: 1-line block ×4, first 2 shown]
	v_fmamk_f16 v65, v66, 0xb461, v42
	v_mul_f16_e32 v68, 0x35c8, v37
	v_fma_f16 v42, v66, 0xb461, -v42
	v_add_f16_e32 v56, v61, v56
	v_mul_f16_e32 v61, 0xbb29, v37
	v_add_f16_e32 v44, v44, v34
	v_add_f16_e32 v64, v64, v79
	;; [unrolled: 1-line block ×4, first 2 shown]
	v_fmamk_f16 v65, v66, 0x3b76, v68
	v_add_f16_e32 v42, v42, v57
	v_fma_f16 v57, v66, 0x3b76, -v68
	v_mul_f16_e32 v68, 0xb836, v37
	v_fmamk_f16 v69, v66, 0x3722, v61
	v_fma_f16 v61, v66, 0x3722, -v61
	v_add_f16_e32 v44, v44, v52
	v_add_f16_e32 v64, v70, v64
	;; [unrolled: 1-line block ×3, first 2 shown]
	v_fmamk_f16 v58, v66, 0xbacd, v68
	v_add_f16_e32 v59, v61, v59
	v_mul_f16_e32 v61, 0x3a62, v37
	v_mul_f16_e32 v37, 0x3964, v37
	v_sub_f16_e32 v39, v46, v39
	v_add_f16_e32 v44, v44, v54
	v_add_f16_e32 v58, v58, v64
	v_fmamk_f16 v46, v66, 0xb8d2, v61
	v_fma_f16 v61, v66, 0xb8d2, -v61
	v_fmamk_f16 v64, v66, 0x39e9, v37
	v_add_f16_e32 v53, v53, v54
	v_mul_f16_e32 v54, 0xbbb2, v39
	v_fma_f16 v37, v66, 0x39e9, -v37
	v_add_f16_e32 v46, v46, v48
	v_add_f16_e32 v47, v61, v47
	;; [unrolled: 1-line block ×3, first 2 shown]
	v_fmamk_f16 v55, v53, 0xb461, v54
	v_mul_f16_e32 v61, 0x3836, v39
	v_add_f16_e32 v37, v37, v41
	v_fma_f16 v41, v53, 0xb461, -v54
	v_mul_f16_e32 v54, 0x3964, v39
	v_add_f16_e32 v50, v55, v50
	v_fmamk_f16 v55, v53, 0xbacd, v61
	v_mul_f16_e32 v64, 0xbb29, v39
	v_add_f16_e32 v41, v41, v43
	v_fmamk_f16 v43, v53, 0x39e9, v54
	v_fma_f16 v54, v53, 0x39e9, -v54
	v_add_f16_e32 v63, v65, v63
	v_add_f16_e32 v65, v69, v67
	v_fma_f16 v67, v66, 0xbacd, -v68
	v_fma_f16 v61, v53, 0xbacd, -v61
	v_add_f16_e32 v55, v55, v62
	v_fma_f16 v62, v53, 0x3722, -v64
	v_add_f16_e32 v42, v54, v42
	v_mul_f16_e32 v54, 0x3bf7, v39
	v_add_f16_e32 v60, v67, v60
	v_add_f16_e32 v56, v61, v56
	;; [unrolled: 1-line block ×3, first 2 shown]
	v_fmamk_f16 v49, v53, 0x3722, v64
	v_mul_f16_e32 v61, 0xb1e1, v39
	v_add_f16_e32 v57, v62, v57
	v_fmamk_f16 v62, v53, 0x2de8, v54
	v_mul_f16_e32 v64, 0xb5c8, v39
	v_fma_f16 v54, v53, 0x2de8, -v54
	v_mul_f16_e32 v39, 0xba62, v39
	v_sub_f16_e32 v40, v45, v40
	v_add_f16_e32 v49, v49, v63
	v_fmamk_f16 v63, v53, 0xbbdd, v61
	v_fma_f16 v61, v53, 0xbbdd, -v61
	v_add_f16_e32 v54, v54, v60
	v_fma_f16 v45, v53, 0x3b76, -v64
	v_fmamk_f16 v60, v53, 0xb8d2, v39
	v_add_f16_e32 v51, v51, v52
	v_mul_f16_e32 v52, 0xba62, v40
	v_fma_f16 v39, v53, 0xb8d2, -v39
	v_add_f16_e32 v59, v61, v59
	v_fmamk_f16 v61, v53, 0x3b76, v64
	v_add_f16_e32 v45, v45, v47
	v_add_f16_e32 v47, v60, v48
	v_mul_f16_e32 v48, 0x3bb2, v40
	v_fmamk_f16 v53, v51, 0xb8d2, v52
	v_fma_f16 v52, v51, 0xb8d2, -v52
	v_add_f16_e32 v37, v39, v37
	v_mul_f16_e32 v39, 0xb5c8, v40
	v_fmamk_f16 v60, v51, 0xb461, v48
	v_add_f16_e32 v50, v53, v50
	v_add_f16_e32 v41, v52, v41
	v_fma_f16 v48, v51, 0xb461, -v48
	v_fmamk_f16 v52, v51, 0x3b76, v39
	v_add_f16_e32 v53, v60, v55
	v_mul_f16_e32 v55, 0xb836, v40
	v_fma_f16 v39, v51, 0x3b76, -v39
	v_add_f16_e32 v48, v48, v56
	v_add_f16_e32 v43, v52, v43
	v_mul_f16_e32 v52, 0x3bf7, v40
	v_fmamk_f16 v56, v51, 0xbacd, v55
	v_add_f16_e32 v39, v39, v42
	v_fma_f16 v42, v51, 0xbacd, -v55
	v_mul_f16_e32 v55, 0xb964, v40
	v_fmamk_f16 v60, v51, 0x2de8, v52
	v_fma_f16 v52, v51, 0x2de8, -v52
	v_add_f16_e32 v58, v62, v58
	v_add_f16_e32 v49, v56, v49
	v_fmamk_f16 v56, v51, 0x39e9, v55
	v_sub_f16_e32 v2, v2, v3
	v_add_f16_e32 v52, v52, v59
	v_mul_f16_e32 v59, 0xb1e1, v40
	v_mul_f16_e32 v40, 0x3b29, v40
	v_add_f16_e32 v46, v61, v46
	v_fma_f16 v55, v51, 0x39e9, -v55
	v_add_f16_e32 v56, v56, v58
	v_fmamk_f16 v3, v51, 0xbbdd, v59
	v_fmamk_f16 v58, v51, 0x3722, v40
	v_add_f16_e32 v33, v33, v34
	v_mul_f16_e32 v34, 0xb836, v2
	v_fma_f16 v40, v51, 0x3722, -v40
	v_add_f16_e32 v54, v55, v54
	v_fma_f16 v55, v51, 0xbbdd, -v59
	v_add_f16_e32 v3, v3, v46
	v_add_f16_e32 v46, v58, v47
	v_fmamk_f16 v47, v33, 0xbacd, v34
	v_mul_f16_e32 v51, 0x3b29, v2
	v_add_f16_e32 v37, v40, v37
	v_fma_f16 v34, v33, 0xbacd, -v34
	v_mul_f16_e32 v40, 0xbbf7, v2
	v_add_f16_e32 v45, v55, v45
	v_add_f16_e32 v47, v47, v50
	v_fmamk_f16 v50, v33, 0x3722, v51
	v_fma_f16 v51, v33, 0x3722, -v51
	v_add_f16_e32 v34, v34, v41
	v_fmamk_f16 v41, v33, 0x2de8, v40
	v_mul_f16_e32 v55, 0x3a62, v2
	v_fma_f16 v40, v33, 0x2de8, -v40
	v_add_f16_e32 v42, v42, v57
	v_add_f16_e32 v50, v50, v53
	;; [unrolled: 1-line block ×4, first 2 shown]
	v_fmamk_f16 v43, v33, 0xb8d2, v55
	v_mul_f16_e32 v51, 0xb5c8, v2
	v_fma_f16 v53, v33, 0xb8d2, -v55
	v_add_f16_e32 v39, v40, v39
	v_mul_f16_e32 v40, 0xb1e1, v2
	v_add_f16_e32 v43, v43, v49
	v_fmamk_f16 v49, v33, 0x3b76, v51
	v_add_f16_e32 v42, v53, v42
	v_fma_f16 v51, v33, 0x3b76, -v51
	v_fmamk_f16 v53, v33, 0xbbdd, v40
	v_mul_f16_e32 v55, 0x3964, v2
	v_mul_f16_e32 v2, 0xbbb2, v2
	v_sub_f16_e32 v0, v0, v1
	v_add_f16_e32 v51, v51, v52
	v_add_f16_e32 v52, v53, v56
	v_fmamk_f16 v53, v33, 0x39e9, v55
	v_fma_f16 v1, v33, 0x39e9, -v55
	v_add_f16_e32 v32, v31, v32
	v_mul_f16_e32 v31, 0xb1e1, v0
	v_fma_f16 v40, v33, 0xbbdd, -v40
	v_add_f16_e32 v3, v53, v3
	v_fmamk_f16 v53, v33, 0xb461, v2
	v_fma_f16 v2, v33, 0xb461, -v2
	v_add_f16_e32 v1, v1, v45
	v_mul_f16_e32 v45, 0x35c8, v0
	v_add_f16_e32 v63, v63, v65
	v_add_f16_e32 v33, v53, v46
	v_fmamk_f16 v46, v32, 0xbbdd, v31
	v_fma_f16 v31, v32, 0xbbdd, -v31
	v_add_f16_e32 v2, v2, v37
	v_mul_f16_e32 v37, 0xb836, v0
	v_fmamk_f16 v53, v32, 0x3b76, v45
	v_add_f16_e32 v57, v60, v63
	v_add_f16_e32 v31, v31, v34
	v_fma_f16 v34, v32, 0x3b76, -v45
	v_fmamk_f16 v45, v32, 0xbacd, v37
	v_add_f16_e32 v46, v46, v47
	v_add_f16_e32 v47, v53, v50
	v_mul_f16_e32 v50, 0x3964, v0
	v_fma_f16 v37, v32, 0xbacd, -v37
	v_add_f16_e32 v41, v45, v41
	v_mul_f16_e32 v45, 0xba62, v0
	v_add_f16_e32 v44, v44, v72
	v_add_f16_e32 v49, v49, v57
	;; [unrolled: 1-line block ×3, first 2 shown]
	v_fmamk_f16 v48, v32, 0x39e9, v50
	v_add_f16_e32 v37, v37, v39
	v_fma_f16 v39, v32, 0x39e9, -v50
	v_mul_f16_e32 v50, 0x3b29, v0
	v_fmamk_f16 v53, v32, 0xb8d2, v45
	v_add_f16_e32 v44, v44, v74
	v_add_f16_e32 v43, v48, v43
	;; [unrolled: 1-line block ×3, first 2 shown]
	v_fmamk_f16 v42, v32, 0x3722, v50
	v_add_f16_e32 v48, v53, v49
	v_mul_f16_e32 v49, 0xbbb2, v0
	v_mul_f16_e32 v0, 0x3bf7, v0
	v_add_f16_e32 v44, v44, v77
	v_fma_f16 v45, v32, 0xb8d2, -v45
	v_add_f16_e32 v40, v40, v54
	v_add_f16_e32 v42, v42, v52
	v_fma_f16 v50, v32, 0x3722, -v50
	v_fmamk_f16 v52, v32, 0x2de8, v0
	v_add_f16_e32 v44, v44, v76
	v_add_f16_e32 v45, v45, v51
	v_fmamk_f16 v51, v32, 0xb461, v49
	v_fma_f16 v49, v32, 0xb461, -v49
	v_fma_f16 v0, v32, 0x2de8, -v0
	v_add_f16_e32 v32, v50, v40
	v_add_f16_e32 v33, v52, v33
	;; [unrolled: 1-line block ×5, first 2 shown]
	s_waitcnt lgkmcnt(0)
	s_barrier
	buffer_gl0_inv
	ds_write_b16 v38, v44
	ds_write_b16 v38, v46 offset:68
	ds_write_b16 v38, v47 offset:136
	ds_write_b16 v38, v41 offset:204
	ds_write_b16 v38, v43 offset:272
	ds_write_b16 v38, v48 offset:340
	ds_write_b16 v38, v42 offset:408
	ds_write_b16 v38, v3 offset:476
	ds_write_b16 v38, v33 offset:544
	ds_write_b16 v38, v0 offset:612
	ds_write_b16 v38, v1 offset:680
	ds_write_b16 v38, v32 offset:748
	ds_write_b16 v38, v45 offset:816
	ds_write_b16 v38, v39 offset:884
	ds_write_b16 v38, v37 offset:952
	ds_write_b16 v38, v34 offset:1020
	ds_write_b16 v38, v31 offset:1088
	s_waitcnt lgkmcnt(0)
	s_barrier
	buffer_gl0_inv
	ds_read_u16 v21, v21
	ds_read_u16 v32, v17 offset:136
	ds_read_u16 v33, v17 offset:272
	ds_read_u16 v34, v17 offset:408
	ds_read_u16 v37, v17 offset:544
	ds_read_u16 v38, v17 offset:680
	ds_read_u16 v39, v17 offset:816
	ds_read_u16 v40, v17 offset:952
	ds_read_u16 v41, v17 offset:1156
	ds_read_u16 v42, v17 offset:1292
	ds_read_u16 v43, v17 offset:1428
	ds_read_u16 v44, v17 offset:1564
	ds_read_u16 v45, v17 offset:1700
	ds_read_u16 v46, v17 offset:1836
	ds_read_u16 v47, v17 offset:1972
	ds_read_u16 v48, v17 offset:2108
	s_and_saveexec_b32 s1, s0
	s_cbranch_execz .LBB0_22
; %bb.21:
	ds_read_u16 v31, v27 offset:1088
	ds_read_u16 v25, v17 offset:2244
	v_mov_b32_e32 v20, v26
.LBB0_22:
	s_or_b32 exec_lo, exec_lo, s1
	s_and_saveexec_b32 s1, vcc_lo
	s_cbranch_execz .LBB0_25
; %bb.23:
	v_mov_b32_e32 v17, 0
	v_lshlrev_b64 v[0:1], 2, v[16:17]
	v_add_co_u32 v16, vcc_lo, s8, v0
	v_add_co_ci_u32_e32 v27, vcc_lo, s9, v1, vcc_lo
	v_add_co_u32 v2, vcc_lo, 0x1000, v16
	v_add_co_ci_u32_e32 v3, vcc_lo, 0, v27, vcc_lo
	;; [unrolled: 2-line block ×3, first 2 shown]
	v_add_co_u32 v18, vcc_lo, s2, v18
	s_clause 0x7
	global_load_dword v51, v[2:3], off offset:52
	global_load_dword v52, v[26:27], off offset:1828
	;; [unrolled: 1-line block ×8, first 2 shown]
	v_mul_hi_u32 v2, 0xe2c4a689, v23
	v_mul_hi_u32 v3, 0xe2c4a689, v22
	v_add_co_ci_u32_e32 v19, vcc_lo, s3, v19, vcc_lo
	v_add_co_u32 v0, vcc_lo, v18, v0
	v_add_co_ci_u32_e32 v1, vcc_lo, v19, v1, vcc_lo
	v_lshrrev_b32_e32 v2, 9, v2
	v_lshrrev_b32_e32 v3, 9, v3
	v_mul_u32_u24_e32 v16, 0x242, v2
	v_add_co_u32 v2, vcc_lo, 0x800, v0
	v_lshlrev_b64 v[18:19], 2, v[16:17]
	v_mul_u32_u24_e32 v16, 0x242, v3
	v_add_co_ci_u32_e32 v3, vcc_lo, 0, v1, vcc_lo
	v_lshlrev_b64 v[22:23], 2, v[16:17]
	v_add_co_u32 v18, vcc_lo, v0, v18
	v_add_co_ci_u32_e32 v19, vcc_lo, v1, v19, vcc_lo
	v_add_co_u32 v22, vcc_lo, v0, v22
	v_add_co_ci_u32_e32 v23, vcc_lo, v1, v23, vcc_lo
	;; [unrolled: 2-line block ×4, first 2 shown]
	s_waitcnt vmcnt(7) lgkmcnt(0)
	v_mul_f16_sdwa v16, v48, v51 dst_sel:DWORD dst_unused:UNUSED_PAD src0_sel:DWORD src1_sel:WORD_1
	v_mul_f16_sdwa v59, v36, v51 dst_sel:DWORD dst_unused:UNUSED_PAD src0_sel:DWORD src1_sel:WORD_1
	s_waitcnt vmcnt(6)
	v_mul_f16_sdwa v60, v47, v52 dst_sel:DWORD dst_unused:UNUSED_PAD src0_sel:DWORD src1_sel:WORD_1
	s_waitcnt vmcnt(4)
	;; [unrolled: 2-line block ×6, first 2 shown]
	v_mul_f16_sdwa v72, v41, v58 dst_sel:DWORD dst_unused:UNUSED_PAD src0_sel:DWORD src1_sel:WORD_1
	v_mul_f16_sdwa v73, v13, v58 dst_sel:DWORD dst_unused:UNUSED_PAD src0_sel:DWORD src1_sel:WORD_1
	;; [unrolled: 1-line block ×9, first 2 shown]
	v_fma_f16 v13, v13, v58, -v72
	v_fmac_f16_e32 v73, v41, v58
	v_fma_f16 v14, v14, v57, -v70
	v_fmac_f16_e32 v71, v42, v57
	;; [unrolled: 2-line block ×8, first 2 shown]
	v_sub_f16_e32 v13, v5, v13
	v_sub_f16_e32 v47, v21, v73
	;; [unrolled: 1-line block ×16, first 2 shown]
	v_fma_f16 v5, v5, 2.0, -v13
	v_fma_f16 v21, v21, 2.0, -v47
	;; [unrolled: 1-line block ×16, first 2 shown]
	v_pack_b32_f16 v13, v13, v47
	v_pack_b32_f16 v14, v14, v46
	;; [unrolled: 1-line block ×13, first 2 shown]
	global_store_dword v[2:3], v13, off offset:264
	global_store_dword v[2:3], v14, off offset:536
	global_store_dword v[2:3], v15, off offset:808
	global_store_dword v[2:3], v28, off offset:1080
	global_store_dword v[2:3], v29, off offset:1352
	v_pack_b32_f16 v10, v10, v38
	global_store_dword v[2:3], v30, off offset:1624
	v_pack_b32_f16 v11, v11, v39
	global_store_dword v[26:27], v35, off offset:1896
	v_pack_b32_f16 v12, v12, v40
	global_store_dword v[0:1], v5, off
	global_store_dword v[0:1], v6, off offset:272
	global_store_dword v[0:1], v7, off offset:544
	;; [unrolled: 1-line block ×8, first 2 shown]
	s_and_b32 exec_lo, exec_lo, s0
	s_cbranch_execz .LBB0_25
; %bb.24:
	v_mov_b32_e32 v21, v17
	v_lshlrev_b64 v[5:6], 2, v[20:21]
	v_add_co_u32 v5, vcc_lo, s8, v5
	v_add_co_ci_u32_e32 v6, vcc_lo, s9, v6, vcc_lo
	v_add_co_u32 v5, vcc_lo, 0x800, v5
	v_add_co_ci_u32_e32 v6, vcc_lo, 0, v6, vcc_lo
	v_add_co_u32 v0, vcc_lo, 0x1000, v0
	v_add_co_ci_u32_e32 v1, vcc_lo, 0, v1, vcc_lo
	global_load_dword v5, v[5:6], off offset:196
	s_waitcnt vmcnt(0)
	v_mul_f16_sdwa v6, v25, v5 dst_sel:DWORD dst_unused:UNUSED_PAD src0_sel:DWORD src1_sel:WORD_1
	v_mul_f16_sdwa v7, v24, v5 dst_sel:DWORD dst_unused:UNUSED_PAD src0_sel:DWORD src1_sel:WORD_1
	v_fma_f16 v6, v24, v5, -v6
	v_fmac_f16_e32 v7, v25, v5
	v_sub_f16_e32 v5, v4, v6
	v_sub_f16_e32 v6, v31, v7
	v_fma_f16 v4, v4, 2.0, -v5
	v_fma_f16 v7, v31, 2.0, -v6
	v_pack_b32_f16 v5, v5, v6
	v_pack_b32_f16 v4, v4, v7
	global_store_dword v[2:3], v4, off offset:128
	global_store_dword v[0:1], v5, off offset:392
.LBB0_25:
	s_endpgm
	.section	.rodata,"a",@progbits
	.p2align	6, 0x0
	.amdhsa_kernel fft_rtc_fwd_len1156_factors_17_2_17_2_wgs_204_tpt_68_halfLds_half_ip_CI_unitstride_sbrr_dirReg
		.amdhsa_group_segment_fixed_size 0
		.amdhsa_private_segment_fixed_size 0
		.amdhsa_kernarg_size 88
		.amdhsa_user_sgpr_count 6
		.amdhsa_user_sgpr_private_segment_buffer 1
		.amdhsa_user_sgpr_dispatch_ptr 0
		.amdhsa_user_sgpr_queue_ptr 0
		.amdhsa_user_sgpr_kernarg_segment_ptr 1
		.amdhsa_user_sgpr_dispatch_id 0
		.amdhsa_user_sgpr_flat_scratch_init 0
		.amdhsa_user_sgpr_private_segment_size 0
		.amdhsa_wavefront_size32 1
		.amdhsa_uses_dynamic_stack 0
		.amdhsa_system_sgpr_private_segment_wavefront_offset 0
		.amdhsa_system_sgpr_workgroup_id_x 1
		.amdhsa_system_sgpr_workgroup_id_y 0
		.amdhsa_system_sgpr_workgroup_id_z 0
		.amdhsa_system_sgpr_workgroup_info 0
		.amdhsa_system_vgpr_workitem_id 0
		.amdhsa_next_free_vgpr 161
		.amdhsa_next_free_sgpr 21
		.amdhsa_reserve_vcc 1
		.amdhsa_reserve_flat_scratch 0
		.amdhsa_float_round_mode_32 0
		.amdhsa_float_round_mode_16_64 0
		.amdhsa_float_denorm_mode_32 3
		.amdhsa_float_denorm_mode_16_64 3
		.amdhsa_dx10_clamp 1
		.amdhsa_ieee_mode 1
		.amdhsa_fp16_overflow 0
		.amdhsa_workgroup_processor_mode 1
		.amdhsa_memory_ordered 1
		.amdhsa_forward_progress 0
		.amdhsa_shared_vgpr_count 0
		.amdhsa_exception_fp_ieee_invalid_op 0
		.amdhsa_exception_fp_denorm_src 0
		.amdhsa_exception_fp_ieee_div_zero 0
		.amdhsa_exception_fp_ieee_overflow 0
		.amdhsa_exception_fp_ieee_underflow 0
		.amdhsa_exception_fp_ieee_inexact 0
		.amdhsa_exception_int_div_zero 0
	.end_amdhsa_kernel
	.text
.Lfunc_end0:
	.size	fft_rtc_fwd_len1156_factors_17_2_17_2_wgs_204_tpt_68_halfLds_half_ip_CI_unitstride_sbrr_dirReg, .Lfunc_end0-fft_rtc_fwd_len1156_factors_17_2_17_2_wgs_204_tpt_68_halfLds_half_ip_CI_unitstride_sbrr_dirReg
                                        ; -- End function
	.section	.AMDGPU.csdata,"",@progbits
; Kernel info:
; codeLenInByte = 14872
; NumSgprs: 23
; NumVgprs: 161
; ScratchSize: 0
; MemoryBound: 0
; FloatMode: 240
; IeeeMode: 1
; LDSByteSize: 0 bytes/workgroup (compile time only)
; SGPRBlocks: 2
; VGPRBlocks: 20
; NumSGPRsForWavesPerEU: 23
; NumVGPRsForWavesPerEU: 161
; Occupancy: 5
; WaveLimiterHint : 1
; COMPUTE_PGM_RSRC2:SCRATCH_EN: 0
; COMPUTE_PGM_RSRC2:USER_SGPR: 6
; COMPUTE_PGM_RSRC2:TRAP_HANDLER: 0
; COMPUTE_PGM_RSRC2:TGID_X_EN: 1
; COMPUTE_PGM_RSRC2:TGID_Y_EN: 0
; COMPUTE_PGM_RSRC2:TGID_Z_EN: 0
; COMPUTE_PGM_RSRC2:TIDIG_COMP_CNT: 0
	.text
	.p2alignl 6, 3214868480
	.fill 48, 4, 3214868480
	.type	__hip_cuid_9dee802c455ab3c5,@object ; @__hip_cuid_9dee802c455ab3c5
	.section	.bss,"aw",@nobits
	.globl	__hip_cuid_9dee802c455ab3c5
__hip_cuid_9dee802c455ab3c5:
	.byte	0                               ; 0x0
	.size	__hip_cuid_9dee802c455ab3c5, 1

	.ident	"AMD clang version 19.0.0git (https://github.com/RadeonOpenCompute/llvm-project roc-6.4.0 25133 c7fe45cf4b819c5991fe208aaa96edf142730f1d)"
	.section	".note.GNU-stack","",@progbits
	.addrsig
	.addrsig_sym __hip_cuid_9dee802c455ab3c5
	.amdgpu_metadata
---
amdhsa.kernels:
  - .args:
      - .actual_access:  read_only
        .address_space:  global
        .offset:         0
        .size:           8
        .value_kind:     global_buffer
      - .offset:         8
        .size:           8
        .value_kind:     by_value
      - .actual_access:  read_only
        .address_space:  global
        .offset:         16
        .size:           8
        .value_kind:     global_buffer
      - .actual_access:  read_only
        .address_space:  global
        .offset:         24
        .size:           8
        .value_kind:     global_buffer
      - .offset:         32
        .size:           8
        .value_kind:     by_value
      - .actual_access:  read_only
        .address_space:  global
        .offset:         40
        .size:           8
        .value_kind:     global_buffer
      - .actual_access:  read_only
        .address_space:  global
        .offset:         48
        .size:           8
        .value_kind:     global_buffer
      - .offset:         56
        .size:           4
        .value_kind:     by_value
      - .actual_access:  read_only
        .address_space:  global
        .offset:         64
        .size:           8
        .value_kind:     global_buffer
      - .actual_access:  read_only
        .address_space:  global
        .offset:         72
        .size:           8
        .value_kind:     global_buffer
      - .address_space:  global
        .offset:         80
        .size:           8
        .value_kind:     global_buffer
    .group_segment_fixed_size: 0
    .kernarg_segment_align: 8
    .kernarg_segment_size: 88
    .language:       OpenCL C
    .language_version:
      - 2
      - 0
    .max_flat_workgroup_size: 204
    .name:           fft_rtc_fwd_len1156_factors_17_2_17_2_wgs_204_tpt_68_halfLds_half_ip_CI_unitstride_sbrr_dirReg
    .private_segment_fixed_size: 0
    .sgpr_count:     23
    .sgpr_spill_count: 0
    .symbol:         fft_rtc_fwd_len1156_factors_17_2_17_2_wgs_204_tpt_68_halfLds_half_ip_CI_unitstride_sbrr_dirReg.kd
    .uniform_work_group_size: 1
    .uses_dynamic_stack: false
    .vgpr_count:     161
    .vgpr_spill_count: 0
    .wavefront_size: 32
    .workgroup_processor_mode: 1
amdhsa.target:   amdgcn-amd-amdhsa--gfx1030
amdhsa.version:
  - 1
  - 2
...

	.end_amdgpu_metadata
